;; amdgpu-corpus repo=ROCm/rocFFT kind=compiled arch=gfx950 opt=O3
	.text
	.amdgcn_target "amdgcn-amd-amdhsa--gfx950"
	.amdhsa_code_object_version 6
	.protected	fft_rtc_back_len1530_factors_17_3_6_5_wgs_102_tpt_102_halfLds_dp_op_CI_CI_unitstride_sbrr_R2C_dirReg ; -- Begin function fft_rtc_back_len1530_factors_17_3_6_5_wgs_102_tpt_102_halfLds_dp_op_CI_CI_unitstride_sbrr_R2C_dirReg
	.globl	fft_rtc_back_len1530_factors_17_3_6_5_wgs_102_tpt_102_halfLds_dp_op_CI_CI_unitstride_sbrr_R2C_dirReg
	.p2align	8
	.type	fft_rtc_back_len1530_factors_17_3_6_5_wgs_102_tpt_102_halfLds_dp_op_CI_CI_unitstride_sbrr_R2C_dirReg,@function
fft_rtc_back_len1530_factors_17_3_6_5_wgs_102_tpt_102_halfLds_dp_op_CI_CI_unitstride_sbrr_R2C_dirReg: ; @fft_rtc_back_len1530_factors_17_3_6_5_wgs_102_tpt_102_halfLds_dp_op_CI_CI_unitstride_sbrr_R2C_dirReg
; %bb.0:
	s_load_dwordx4 s[4:7], s[0:1], 0x58
	s_load_dwordx4 s[8:11], s[0:1], 0x0
	;; [unrolled: 1-line block ×3, first 2 shown]
	v_mul_u32_u24_e32 v1, 0x283, v0
	v_add_u32_sdwa v6, s2, v1 dst_sel:DWORD dst_unused:UNUSED_PAD src0_sel:DWORD src1_sel:WORD_1
	v_mov_b32_e32 v4, 0
	s_waitcnt lgkmcnt(0)
	v_cmp_lt_u64_e64 s[2:3], s[10:11], 2
	v_mov_b32_e32 v7, v4
	s_and_b64 vcc, exec, s[2:3]
	v_mov_b64_e32 v[2:3], 0
	s_cbranch_vccnz .LBB0_8
; %bb.1:
	s_load_dwordx2 s[2:3], s[0:1], 0x10
	s_add_u32 s16, s14, 8
	s_addc_u32 s17, s15, 0
	s_add_u32 s18, s12, 8
	s_addc_u32 s19, s13, 0
	s_waitcnt lgkmcnt(0)
	s_add_u32 s20, s2, 8
	v_mov_b64_e32 v[2:3], 0
	s_addc_u32 s21, s3, 0
	s_mov_b64 s[22:23], 1
	v_mov_b64_e32 v[120:121], v[2:3]
.LBB0_2:                                ; =>This Inner Loop Header: Depth=1
	s_load_dwordx2 s[24:25], s[20:21], 0x0
                                        ; implicit-def: $vgpr124_vgpr125
	s_waitcnt lgkmcnt(0)
	v_or_b32_e32 v5, s25, v7
	v_cmp_ne_u64_e32 vcc, 0, v[4:5]
	s_and_saveexec_b64 s[2:3], vcc
	s_xor_b64 s[26:27], exec, s[2:3]
	s_cbranch_execz .LBB0_4
; %bb.3:                                ;   in Loop: Header=BB0_2 Depth=1
	v_cvt_f32_u32_e32 v1, s24
	v_cvt_f32_u32_e32 v5, s25
	s_sub_u32 s2, 0, s24
	s_subb_u32 s3, 0, s25
	v_fmac_f32_e32 v1, 0x4f800000, v5
	v_rcp_f32_e32 v1, v1
	s_nop 0
	v_mul_f32_e32 v1, 0x5f7ffffc, v1
	v_mul_f32_e32 v5, 0x2f800000, v1
	v_trunc_f32_e32 v5, v5
	v_fmac_f32_e32 v1, 0xcf800000, v5
	v_cvt_u32_f32_e32 v5, v5
	v_cvt_u32_f32_e32 v1, v1
	v_mul_lo_u32 v8, s2, v5
	v_mul_hi_u32 v10, s2, v1
	v_mul_lo_u32 v9, s3, v1
	v_add_u32_e32 v10, v10, v8
	v_mul_lo_u32 v12, s2, v1
	v_add_u32_e32 v13, v10, v9
	v_mul_hi_u32 v8, v1, v12
	v_mul_hi_u32 v11, v1, v13
	v_mul_lo_u32 v10, v1, v13
	v_mov_b32_e32 v9, v4
	v_lshl_add_u64 v[8:9], v[8:9], 0, v[10:11]
	v_mul_hi_u32 v11, v5, v12
	v_mul_lo_u32 v12, v5, v12
	v_add_co_u32_e32 v8, vcc, v8, v12
	v_mul_hi_u32 v10, v5, v13
	s_nop 0
	v_addc_co_u32_e32 v8, vcc, v9, v11, vcc
	v_mov_b32_e32 v9, v4
	s_nop 0
	v_addc_co_u32_e32 v11, vcc, 0, v10, vcc
	v_mul_lo_u32 v10, v5, v13
	v_lshl_add_u64 v[8:9], v[8:9], 0, v[10:11]
	v_add_co_u32_e32 v1, vcc, v1, v8
	v_mul_lo_u32 v10, s2, v1
	s_nop 0
	v_addc_co_u32_e32 v5, vcc, v5, v9, vcc
	v_mul_lo_u32 v8, s2, v5
	v_mul_hi_u32 v9, s2, v1
	v_add_u32_e32 v8, v9, v8
	v_mul_lo_u32 v9, s3, v1
	v_add_u32_e32 v12, v8, v9
	v_mul_hi_u32 v14, v5, v10
	v_mul_lo_u32 v15, v5, v10
	v_mul_hi_u32 v9, v1, v12
	v_mul_lo_u32 v8, v1, v12
	v_mul_hi_u32 v10, v1, v10
	v_mov_b32_e32 v11, v4
	v_lshl_add_u64 v[8:9], v[10:11], 0, v[8:9]
	v_add_co_u32_e32 v8, vcc, v8, v15
	v_mul_hi_u32 v13, v5, v12
	s_nop 0
	v_addc_co_u32_e32 v8, vcc, v9, v14, vcc
	v_mul_lo_u32 v10, v5, v12
	s_nop 0
	v_addc_co_u32_e32 v11, vcc, 0, v13, vcc
	v_mov_b32_e32 v9, v4
	v_lshl_add_u64 v[8:9], v[8:9], 0, v[10:11]
	v_add_co_u32_e32 v1, vcc, v1, v8
	v_mul_hi_u32 v10, v6, v1
	s_nop 0
	v_addc_co_u32_e32 v5, vcc, v5, v9, vcc
	v_mad_u64_u32 v[8:9], s[2:3], v6, v5, 0
	v_mov_b32_e32 v11, v4
	v_lshl_add_u64 v[8:9], v[10:11], 0, v[8:9]
	v_mad_u64_u32 v[12:13], s[2:3], v7, v1, 0
	v_add_co_u32_e32 v1, vcc, v8, v12
	v_mad_u64_u32 v[10:11], s[2:3], v7, v5, 0
	s_nop 0
	v_addc_co_u32_e32 v8, vcc, v9, v13, vcc
	v_mov_b32_e32 v9, v4
	s_nop 0
	v_addc_co_u32_e32 v11, vcc, 0, v11, vcc
	v_lshl_add_u64 v[8:9], v[8:9], 0, v[10:11]
	v_mul_lo_u32 v1, s25, v8
	v_mul_lo_u32 v5, s24, v9
	v_mad_u64_u32 v[10:11], s[2:3], s24, v8, 0
	v_add3_u32 v1, v11, v5, v1
	v_sub_u32_e32 v5, v7, v1
	v_mov_b32_e32 v11, s25
	v_sub_co_u32_e32 v14, vcc, v6, v10
	v_lshl_add_u64 v[12:13], v[8:9], 0, 1
	s_nop 0
	v_subb_co_u32_e64 v5, s[2:3], v5, v11, vcc
	v_subrev_co_u32_e64 v10, s[2:3], s24, v14
	v_subb_co_u32_e32 v1, vcc, v7, v1, vcc
	s_nop 0
	v_subbrev_co_u32_e64 v5, s[2:3], 0, v5, s[2:3]
	v_cmp_le_u32_e64 s[2:3], s25, v5
	v_cmp_le_u32_e32 vcc, s25, v1
	s_nop 0
	v_cndmask_b32_e64 v11, 0, -1, s[2:3]
	v_cmp_le_u32_e64 s[2:3], s24, v10
	s_nop 1
	v_cndmask_b32_e64 v10, 0, -1, s[2:3]
	v_cmp_eq_u32_e64 s[2:3], s25, v5
	s_nop 1
	v_cndmask_b32_e64 v5, v11, v10, s[2:3]
	v_lshl_add_u64 v[10:11], v[8:9], 0, 2
	v_cmp_ne_u32_e64 s[2:3], 0, v5
	s_nop 1
	v_cndmask_b32_e64 v5, v13, v11, s[2:3]
	v_cndmask_b32_e64 v11, 0, -1, vcc
	v_cmp_le_u32_e32 vcc, s24, v14
	s_nop 1
	v_cndmask_b32_e64 v13, 0, -1, vcc
	v_cmp_eq_u32_e32 vcc, s25, v1
	s_nop 1
	v_cndmask_b32_e32 v1, v11, v13, vcc
	v_cmp_ne_u32_e32 vcc, 0, v1
	v_cndmask_b32_e64 v1, v12, v10, s[2:3]
	s_nop 0
	v_cndmask_b32_e32 v125, v9, v5, vcc
	v_cndmask_b32_e32 v124, v8, v1, vcc
.LBB0_4:                                ;   in Loop: Header=BB0_2 Depth=1
	s_andn2_saveexec_b64 s[2:3], s[26:27]
	s_cbranch_execz .LBB0_6
; %bb.5:                                ;   in Loop: Header=BB0_2 Depth=1
	v_cvt_f32_u32_e32 v1, s24
	s_sub_i32 s26, 0, s24
	v_mov_b32_e32 v125, v4
	v_rcp_iflag_f32_e32 v1, v1
	s_nop 0
	v_mul_f32_e32 v1, 0x4f7ffffe, v1
	v_cvt_u32_f32_e32 v1, v1
	v_mul_lo_u32 v5, s26, v1
	v_mul_hi_u32 v5, v1, v5
	v_add_u32_e32 v1, v1, v5
	v_mul_hi_u32 v1, v6, v1
	v_mul_lo_u32 v5, v1, s24
	v_sub_u32_e32 v5, v6, v5
	v_add_u32_e32 v8, 1, v1
	v_subrev_u32_e32 v9, s24, v5
	v_cmp_le_u32_e32 vcc, s24, v5
	s_nop 1
	v_cndmask_b32_e32 v5, v5, v9, vcc
	v_cndmask_b32_e32 v1, v1, v8, vcc
	v_add_u32_e32 v8, 1, v1
	v_cmp_le_u32_e32 vcc, s24, v5
	s_nop 1
	v_cndmask_b32_e32 v124, v1, v8, vcc
.LBB0_6:                                ;   in Loop: Header=BB0_2 Depth=1
	s_or_b64 exec, exec, s[2:3]
	v_mad_u64_u32 v[8:9], s[2:3], v124, s24, 0
	s_load_dwordx2 s[2:3], s[18:19], 0x0
	v_mul_lo_u32 v1, v125, s24
	v_mul_lo_u32 v5, v124, s25
	s_load_dwordx2 s[24:25], s[16:17], 0x0
	s_add_u32 s22, s22, 1
	v_add3_u32 v1, v9, v5, v1
	v_sub_co_u32_e32 v5, vcc, v6, v8
	s_addc_u32 s23, s23, 0
	s_nop 0
	v_subb_co_u32_e32 v1, vcc, v7, v1, vcc
	s_add_u32 s16, s16, 8
	s_waitcnt lgkmcnt(0)
	v_mul_lo_u32 v6, s2, v1
	v_mul_lo_u32 v7, s3, v5
	v_mad_u64_u32 v[2:3], s[2:3], s2, v5, v[2:3]
	s_addc_u32 s17, s17, 0
	v_add3_u32 v3, v7, v3, v6
	v_mul_lo_u32 v1, s24, v1
	v_mul_lo_u32 v6, s25, v5
	v_mad_u64_u32 v[120:121], s[2:3], s24, v5, v[120:121]
	s_add_u32 s18, s18, 8
	v_add3_u32 v121, v6, v121, v1
	s_addc_u32 s19, s19, 0
	v_mov_b64_e32 v[6:7], s[10:11]
	s_add_u32 s20, s20, 8
	v_cmp_ge_u64_e32 vcc, s[22:23], v[6:7]
	s_addc_u32 s21, s21, 0
	s_cbranch_vccnz .LBB0_9
; %bb.7:                                ;   in Loop: Header=BB0_2 Depth=1
	v_mov_b64_e32 v[6:7], v[124:125]
	s_branch .LBB0_2
.LBB0_8:
	v_mov_b64_e32 v[120:121], v[2:3]
	v_mov_b64_e32 v[124:125], v[6:7]
.LBB0_9:
	s_load_dwordx2 s[18:19], s[0:1], 0x28
	s_lshl_b64 s[16:17], s[10:11], 3
	s_add_u32 s2, s14, s16
	s_addc_u32 s3, s15, s17
                                        ; implicit-def: $vgpr122
	s_waitcnt lgkmcnt(0)
	v_cmp_gt_u64_e64 s[0:1], s[18:19], v[124:125]
	v_cmp_le_u64_e32 vcc, s[18:19], v[124:125]
	s_and_saveexec_b64 s[10:11], vcc
	s_xor_b64 s[10:11], exec, s[10:11]
; %bb.10:
	s_mov_b32 s14, 0x2828283
	v_mul_hi_u32 v1, v0, s14
	v_mul_u32_u24_e32 v1, 0x66, v1
	v_sub_u32_e32 v122, v0, v1
                                        ; implicit-def: $vgpr0
                                        ; implicit-def: $vgpr2_vgpr3
; %bb.11:
	s_andn2_saveexec_b64 s[10:11], s[10:11]
	s_cbranch_execz .LBB0_13
; %bb.12:
	s_add_u32 s12, s12, s16
	s_addc_u32 s13, s13, s17
	s_load_dwordx2 s[12:13], s[12:13], 0x0
	s_mov_b32 s14, 0x2828283
	v_mov_b32_e32 v61, 0
	s_waitcnt lgkmcnt(0)
	v_mul_lo_u32 v1, s13, v124
	v_mul_lo_u32 v6, s12, v125
	v_mad_u64_u32 v[4:5], s[12:13], s12, v124, 0
	v_add3_u32 v5, v5, v6, v1
	v_mul_hi_u32 v1, v0, s14
	v_mul_u32_u24_e32 v1, 0x66, v1
	v_sub_u32_e32 v122, v0, v1
	v_lshl_add_u64 v[0:1], v[4:5], 4, s[4:5]
	v_lshl_add_u64 v[0:1], v[2:3], 4, v[0:1]
	v_lshlrev_b32_e32 v60, 4, v122
	v_lshl_add_u64 v[48:49], v[0:1], 0, v[60:61]
	s_movk_i32 s4, 0x1000
	v_add_co_u32_e32 v32, vcc, s4, v48
	s_movk_i32 s5, 0x2000
	s_nop 0
	v_addc_co_u32_e32 v33, vcc, 0, v49, vcc
	v_add_co_u32_e32 v34, vcc, s5, v48
	s_movk_i32 s12, 0x3000
	s_nop 0
	v_addc_co_u32_e32 v35, vcc, 0, v49, vcc
	v_add_co_u32_e32 v50, vcc, s12, v48
	global_load_dwordx4 v[0:3], v[48:49], off
	global_load_dwordx4 v[4:7], v[48:49], off offset:1632
	v_addc_co_u32_e32 v51, vcc, 0, v49, vcc
	v_add_co_u32_e32 v62, vcc, 0x4000, v48
	global_load_dwordx4 v[8:11], v[48:49], off offset:3264
	global_load_dwordx4 v[12:15], v[32:33], off offset:800
	;; [unrolled: 1-line block ×6, first 2 shown]
	v_addc_co_u32_e32 v63, vcc, 0, v49, vcc
	v_add_co_u32_e32 v64, vcc, 0x5000, v48
	global_load_dwordx4 v[32:35], v[50:51], off offset:768
	global_load_dwordx4 v[36:39], v[50:51], off offset:2400
	;; [unrolled: 1-line block ×4, first 2 shown]
	v_addc_co_u32_e32 v65, vcc, 0, v49, vcc
	global_load_dwordx4 v[48:51], v[62:63], off offset:3200
	global_load_dwordx4 v[52:55], v[64:65], off offset:736
	;; [unrolled: 1-line block ×3, first 2 shown]
	v_add_u32_e32 v60, 0, v60
	s_waitcnt vmcnt(14)
	ds_write_b128 v60, v[0:3]
	s_waitcnt vmcnt(13)
	ds_write_b128 v60, v[4:7] offset:1632
	s_waitcnt vmcnt(12)
	ds_write_b128 v60, v[8:11] offset:3264
	;; [unrolled: 2-line block ×14, first 2 shown]
.LBB0_13:
	s_or_b64 exec, exec, s[10:11]
	v_lshl_add_u32 v250, v122, 4, 0
	s_waitcnt lgkmcnt(0)
	s_barrier
	ds_read_b128 v[8:11], v250 offset:23040
	ds_read_b128 v[12:15], v250 offset:1440
	ds_read_b128 v[16:19], v250
	ds_read_b128 v[20:23], v250 offset:2880
	ds_read_b128 v[24:27], v250 offset:4320
	;; [unrolled: 1-line block ×4, first 2 shown]
	s_mov_b32 s16, 0x5d8e7cdc
	s_waitcnt lgkmcnt(5)
	v_add_f64 v[116:117], v[14:15], -v[10:11]
	s_mov_b32 s4, 0x370991
	s_mov_b32 s17, 0xbfd71e95
	;; [unrolled: 1-line block ×3, first 2 shown]
	ds_read_b128 v[36:39], v250 offset:18720
	ds_read_b128 v[40:43], v250 offset:5760
	v_add_f64 v[138:139], v[12:13], v[8:9]
	v_add_f64 v[148:149], v[14:15], v[10:11]
	s_mov_b32 s5, 0x3fedd6d0
	v_mul_f64 v[78:79], v[116:117], s[16:17]
	s_mov_b32 s10, 0x75d4884
	s_mov_b32 s15, 0xbfe58eea
	s_waitcnt lgkmcnt(3)
	v_add_f64 v[118:119], v[22:23], -v[30:31]
	v_add_f64 v[142:143], v[12:13], -v[8:9]
	v_mul_f64 v[80:81], v[148:149], s[4:5]
	v_fma_f64 v[0:1], v[138:139], s[4:5], -v[78:79]
	s_mov_b32 s11, 0x3fe7a5f6
	v_add_f64 v[150:151], v[20:21], v[28:29]
	v_add_f64 v[160:161], v[22:23], v[30:31]
	v_mul_f64 v[82:83], v[118:119], s[14:15]
	s_mov_b32 s22, 0x7c9e640b
	ds_read_b128 v[44:47], v250 offset:7200
	ds_read_b128 v[48:51], v250 offset:17280
	v_add_f64 v[0:1], v[16:17], v[0:1]
	v_fma_f64 v[2:3], s[16:17], v[142:143], v[80:81]
	v_add_f64 v[152:153], v[20:21], -v[28:29]
	v_mul_f64 v[84:85], v[160:161], s[10:11]
	v_fma_f64 v[4:5], v[150:151], s[10:11], -v[82:83]
	s_mov_b32 s12, 0x2b2883cd
	s_mov_b32 s23, 0xbfeca52d
	s_waitcnt lgkmcnt(4)
	v_add_f64 v[182:183], v[26:27], -v[34:35]
	v_add_f64 v[2:3], v[18:19], v[2:3]
	v_add_f64 v[0:1], v[4:5], v[0:1]
	v_fma_f64 v[4:5], s[14:15], v[152:153], v[84:85]
	s_mov_b32 s13, 0x3fdc86fa
	v_add_f64 v[156:157], v[24:25], v[32:33]
	v_mul_f64 v[86:87], v[182:183], s[22:23]
	v_add_f64 v[174:175], v[26:27], v[34:35]
	s_mov_b32 s24, 0xeb564b22
	ds_read_b128 v[52:55], v250 offset:15840
	ds_read_b128 v[56:59], v250 offset:8640
	v_add_f64 v[2:3], v[4:5], v[2:3]
	v_fma_f64 v[4:5], v[156:157], s[12:13], -v[86:87]
	v_add_f64 v[158:159], v[24:25], -v[32:33]
	v_mul_f64 v[88:89], v[174:175], s[12:13]
	s_mov_b32 s18, 0x3259b75e
	s_mov_b32 s25, 0xbfefdd0d
	s_waitcnt lgkmcnt(4)
	v_add_f64 v[218:219], v[42:43], -v[38:39]
	v_add_f64 v[0:1], v[4:5], v[0:1]
	v_fma_f64 v[4:5], s[22:23], v[158:159], v[88:89]
	s_mov_b32 s19, 0x3fb79ee6
	v_add_f64 v[170:171], v[40:41], v[36:37]
	v_mul_f64 v[90:91], v[218:219], s[24:25]
	v_add_f64 v[206:207], v[42:43], v[38:39]
	s_mov_b32 s28, 0x923c349f
	ds_read_b128 v[60:63], v250 offset:10080
	ds_read_b128 v[64:67], v250 offset:14400
	v_add_f64 v[2:3], v[4:5], v[2:3]
	v_fma_f64 v[4:5], v[170:171], s[18:19], -v[90:91]
	v_add_f64 v[176:177], v[40:41], -v[36:37]
	v_mul_f64 v[94:95], v[206:207], s[18:19]
	s_mov_b32 s26, 0xc61f0d01
	s_mov_b32 s29, 0xbfeec746
	s_waitcnt lgkmcnt(4)
	v_add_f64 v[226:227], v[46:47], -v[50:51]
	;; [unrolled: 17-line block ×3, first 2 shown]
	v_add_f64 v[0:1], v[4:5], v[0:1]
	v_fma_f64 v[4:5], s[28:29], v[178:179], v[154:155]
	s_mov_b32 s35, 0xbfe348c8
	v_add_f64 v[190:191], v[56:57], v[52:53]
	v_mul_f64 v[162:163], v[240:241], s[30:31]
	v_add_f64 v[238:239], v[58:59], v[54:55]
	s_mov_b32 s42, 0x4363dd80
	v_add_f64 v[2:3], v[4:5], v[2:3]
	v_fma_f64 v[4:5], v[190:191], s[34:35], -v[162:163]
	v_add_f64 v[196:197], v[56:57], -v[52:53]
	v_mul_f64 v[166:167], v[238:239], s[34:35]
	s_mov_b32 s38, 0x910ea3b9
	s_mov_b32 s43, 0x3fe0d888
	;; [unrolled: 1-line block ×4, first 2 shown]
	s_waitcnt lgkmcnt(2)
	v_add_f64 v[244:245], v[62:63], -v[66:67]
	v_add_f64 v[0:1], v[4:5], v[0:1]
	v_fma_f64 v[4:5], s[30:31], v[196:197], v[166:167]
	s_mov_b32 s39, 0xbfeb34fa
	v_add_f64 v[186:187], v[60:61], v[64:65]
	v_mul_f64 v[164:165], v[244:245], s[36:37]
	v_add_f64 v[242:243], v[62:63], v[66:67]
	v_add_f64 v[2:3], v[4:5], v[2:3]
	v_fma_f64 v[4:5], v[186:187], s[38:39], -v[164:165]
	v_add_f64 v[194:195], v[60:61], -v[64:65]
	v_mul_f64 v[172:173], v[242:243], s[38:39]
	s_mov_b32 s40, 0x7faef3
	s_mov_b32 s51, 0xbfc7851a
	s_mov_b32 s50, 0xacd6c6b4
	s_waitcnt lgkmcnt(0)
	v_add_f64 v[248:249], v[70:71], -v[74:75]
	v_add_f64 v[0:1], v[4:5], v[0:1]
	v_fma_f64 v[4:5], s[36:37], v[194:195], v[172:173]
	s_mov_b32 s41, 0xbfef7484
	v_add_f64 v[202:203], v[68:69], v[72:73]
	v_mul_f64 v[180:181], v[248:249], s[50:51]
	v_add_f64 v[246:247], v[70:71], v[74:75]
	v_add_f64 v[2:3], v[4:5], v[2:3]
	v_fma_f64 v[4:5], v[202:203], s[40:41], -v[180:181]
	v_add_f64 v[216:217], v[68:69], -v[72:73]
	v_mul_f64 v[184:185], v[246:247], s[40:41]
	v_add_f64 v[0:1], v[4:5], v[0:1]
	v_fma_f64 v[4:5], s[50:51], v[216:217], v[184:185]
	v_mul_f64 v[188:189], v[116:117], s[14:15]
	v_add_f64 v[2:3], v[4:5], v[2:3]
	v_fma_f64 v[4:5], v[138:139], s[10:11], -v[188:189]
	v_mul_f64 v[192:193], v[118:119], s[24:25]
	v_add_f64 v[4:5], v[16:17], v[4:5]
	v_fma_f64 v[6:7], v[150:151], s[18:19], -v[192:193]
	v_mul_f64 v[204:205], v[148:149], s[10:11]
	v_add_f64 v[4:5], v[6:7], v[4:5]
	v_fma_f64 v[6:7], s[14:15], v[142:143], v[204:205]
	v_mul_f64 v[208:209], v[160:161], s[18:19]
	v_add_f64 v[6:7], v[18:19], v[6:7]
	v_fma_f64 v[76:77], s[24:25], v[152:153], v[208:209]
	v_mul_f64 v[198:199], v[182:183], s[30:31]
	v_add_f64 v[6:7], v[76:77], v[6:7]
	v_fma_f64 v[76:77], v[156:157], s[34:35], -v[198:199]
	v_mul_f64 v[212:213], v[174:175], s[34:35]
	v_add_f64 v[4:5], v[76:77], v[4:5]
	v_fma_f64 v[76:77], s[30:31], v[158:159], v[212:213]
	v_mul_f64 v[200:201], v[218:219], s[50:51]
	v_add_f64 v[6:7], v[76:77], v[6:7]
	v_fma_f64 v[76:77], v[170:171], s[40:41], -v[200:201]
	;; [unrolled: 6-line block ×3, first 2 shown]
	v_mul_f64 v[228:229], v[222:223], s[38:39]
	s_mov_b32 s47, 0x3feec746
	s_mov_b32 s46, s28
	v_add_f64 v[4:5], v[76:77], v[4:5]
	v_fma_f64 v[76:77], s[42:43], v[178:179], v[228:229]
	v_mul_f64 v[214:215], v[240:241], s[46:47]
	v_add_f64 v[6:7], v[76:77], v[6:7]
	v_fma_f64 v[76:77], v[190:191], s[26:27], -v[214:215]
	v_mul_f64 v[232:233], v[238:239], s[26:27]
	s_mov_b32 s45, 0x3feca52d
	s_mov_b32 s44, s22
	v_add_f64 v[4:5], v[76:77], v[4:5]
	v_fma_f64 v[76:77], s[46:47], v[196:197], v[232:233]
	v_mul_f64 v[224:225], v[244:245], s[44:45]
	v_add_f64 v[6:7], v[76:77], v[6:7]
	v_fma_f64 v[76:77], v[186:187], s[12:13], -v[224:225]
	;; [unrolled: 8-line block ×3, first 2 shown]
	v_mul_f64 v[236:237], v[246:247], s[4:5]
	v_add_f64 v[4:5], v[76:77], v[4:5]
	v_fma_f64 v[76:77], s[48:49], v[216:217], v[236:237]
	s_movk_i32 s20, 0x5a
	v_add_f64 v[6:7], v[76:77], v[6:7]
	v_cmp_gt_u32_e32 vcc, s20, v122
	s_barrier
	s_and_saveexec_b64 s[20:21], vcc
	s_cbranch_execz .LBB0_15
; %bb.14:
	v_mul_f64 v[104:105], v[142:143], s[50:51]
	v_mul_f64 v[100:101], v[152:153], s[48:49]
	v_fma_f64 v[106:107], s[40:41], v[148:149], v[104:105]
	v_mul_f64 v[114:115], v[116:117], s[50:51]
	s_mov_b32 s53, 0x3fe58eea
	s_mov_b32 s52, s14
	v_accvgpr_write_b32 a16, v92
	v_mul_f64 v[96:97], v[158:159], s[36:37]
	v_fma_f64 v[102:103], s[4:5], v[160:161], v[100:101]
	v_add_f64 v[106:107], v[18:19], v[106:107]
	v_mul_f64 v[110:111], v[118:119], s[48:49]
	v_fma_f64 v[252:253], v[138:139], s[40:41], -v[114:115]
	v_accvgpr_write_b32 a22, v88
	v_accvgpr_write_b32 a17, v93
	v_mul_f64 v[92:93], v[176:177], s[52:53]
	v_accvgpr_write_b32 a24, v94
	v_fma_f64 v[98:99], s[38:39], v[174:175], v[96:97]
	v_add_f64 v[102:103], v[102:103], v[106:107]
	v_mul_f64 v[108:109], v[182:183], s[36:37]
	v_fma_f64 v[112:113], v[150:151], s[4:5], -v[110:111]
	v_add_f64 v[252:253], v[16:17], v[252:253]
	v_accvgpr_write_b32 a20, v84
	v_accvgpr_write_b32 a23, v89
	v_mul_f64 v[88:89], v[178:179], s[30:31]
	v_accvgpr_write_b32 a14, v90
	v_accvgpr_write_b32 a25, v95
	v_fma_f64 v[94:95], s[10:11], v[206:207], v[92:93]
	v_add_f64 v[98:99], v[98:99], v[102:103]
	v_mul_f64 v[106:107], v[218:219], s[52:53]
	v_add_f64 v[112:113], v[112:113], v[252:253]
	v_fma_f64 v[252:253], v[156:157], s[38:39], -v[108:109]
	v_accvgpr_write_b32 a10, v82
	v_accvgpr_write_b32 a21, v85
	v_mul_f64 v[84:85], v[196:197], s[44:45]
	v_accvgpr_write_b32 a12, v86
	v_accvgpr_write_b32 a15, v91
	v_fma_f64 v[90:91], s[34:35], v[222:223], v[88:89]
	v_add_f64 v[94:95], v[94:95], v[98:99]
	v_mul_f64 v[102:103], v[226:227], s[30:31]
	v_add_f64 v[112:113], v[252:253], v[112:113]
	v_fma_f64 v[252:253], v[170:171], s[10:11], -v[106:107]
	s_mov_b32 s57, 0x3fefdd0d
	s_mov_b32 s56, s24
	v_accvgpr_write_b32 a18, v80
	v_accvgpr_write_b32 a11, v83
	v_mul_f64 v[82:83], v[194:195], s[28:29]
	v_accvgpr_write_b32 a8, v78
	v_accvgpr_write_b32 a13, v87
	v_fma_f64 v[86:87], s[12:13], v[238:239], v[84:85]
	v_add_f64 v[90:91], v[90:91], v[94:95]
	v_mul_f64 v[98:99], v[240:241], s[44:45]
	v_add_f64 v[112:113], v[252:253], v[112:113]
	v_fma_f64 v[252:253], v[168:169], s[34:35], -v[102:103]
	v_accvgpr_write_b32 a19, v81
	v_mul_f64 v[80:81], v[216:217], s[56:57]
	v_accvgpr_write_b32 a9, v79
	v_fma_f64 v[78:79], s[26:27], v[242:243], v[82:83]
	v_add_f64 v[86:87], v[86:87], v[90:91]
	v_mul_f64 v[90:91], v[244:245], s[28:29]
	v_add_f64 v[112:113], v[252:253], v[112:113]
	v_fma_f64 v[252:253], v[190:191], s[12:13], -v[98:99]
	v_fma_f64 v[76:77], s[18:19], v[246:247], v[80:81]
	v_add_f64 v[78:79], v[78:79], v[86:87]
	v_mul_f64 v[86:87], v[248:249], s[56:57]
	v_fma_f64 v[94:95], v[186:187], s[26:27], -v[90:91]
	v_add_f64 v[112:113], v[252:253], v[112:113]
	v_add_f64 v[78:79], v[76:77], v[78:79]
	v_fma_f64 v[76:77], v[202:203], s[18:19], -v[86:87]
	v_add_f64 v[94:95], v[94:95], v[112:113]
	v_add_f64 v[76:77], v[76:77], v[94:95]
	v_fma_f64 v[94:95], v[174:175], s[38:39], -v[96:97]
	v_fma_f64 v[96:97], v[160:161], s[4:5], -v[100:101]
	;; [unrolled: 1-line block ×3, first 2 shown]
	v_add_f64 v[100:101], v[18:19], v[100:101]
	v_add_f64 v[96:97], v[96:97], v[100:101]
	v_fma_f64 v[92:93], v[206:207], s[10:11], -v[92:93]
	v_add_f64 v[94:95], v[94:95], v[96:97]
	v_fma_f64 v[88:89], v[222:223], s[34:35], -v[88:89]
	;; [unrolled: 2-line block ×4, first 2 shown]
	v_add_f64 v[84:85], v[84:85], v[88:89]
	v_accvgpr_write_b32 a0, v76
	v_fma_f64 v[80:81], v[246:247], s[18:19], -v[80:81]
	v_add_f64 v[82:83], v[82:83], v[84:85]
	v_fmac_f64_e32 v[114:115], s[40:41], v[138:139]
	v_accvgpr_write_b32 a1, v77
	v_accvgpr_write_b32 a2, v78
	;; [unrolled: 1-line block ×3, first 2 shown]
	v_add_f64 v[78:79], v[80:81], v[82:83]
	v_fmac_f64_e32 v[110:111], s[4:5], v[150:151]
	v_add_f64 v[80:81], v[16:17], v[114:115]
	v_fmac_f64_e32 v[108:109], s[38:39], v[156:157]
	;; [unrolled: 2-line block ×3, first 2 shown]
	v_add_f64 v[80:81], v[108:109], v[80:81]
	v_mul_f64 v[110:111], v[142:143], s[36:37]
	v_fmac_f64_e32 v[102:103], s[34:35], v[168:169]
	v_add_f64 v[80:81], v[106:107], v[80:81]
	v_mul_f64 v[106:107], v[152:153], s[44:45]
	v_fma_f64 v[112:113], s[38:39], v[148:149], v[110:111]
	v_fmac_f64_e32 v[98:99], s[12:13], v[190:191]
	v_add_f64 v[80:81], v[102:103], v[80:81]
	s_mov_b32 s55, 0x3fe9895b
	s_mov_b32 s54, s30
	v_mul_f64 v[102:103], v[158:159], s[24:25]
	v_fma_f64 v[108:109], s[12:13], v[160:161], v[106:107]
	v_add_f64 v[112:113], v[18:19], v[112:113]
	v_add_f64 v[80:81], v[98:99], v[80:81]
	v_mul_f64 v[98:99], v[176:177], s[54:55]
	v_fma_f64 v[104:105], s[18:19], v[174:175], v[102:103]
	v_add_f64 v[108:109], v[108:109], v[112:113]
	v_fmac_f64_e32 v[90:91], s[26:27], v[186:187]
	v_mul_f64 v[94:95], v[178:179], s[16:17]
	v_fma_f64 v[100:101], s[34:35], v[206:207], v[98:99]
	v_add_f64 v[104:105], v[104:105], v[108:109]
	v_fmac_f64_e32 v[86:87], s[18:19], v[202:203]
	v_add_f64 v[80:81], v[90:91], v[80:81]
	v_mul_f64 v[92:93], v[196:197], s[50:51]
	v_fma_f64 v[96:97], s[4:5], v[222:223], v[94:95]
	v_add_f64 v[100:101], v[100:101], v[104:105]
	v_add_f64 v[76:77], v[86:87], v[80:81]
	v_mul_f64 v[90:91], v[194:195], s[52:53]
	v_fma_f64 v[86:87], s[40:41], v[238:239], v[92:93]
	v_add_f64 v[96:97], v[96:97], v[100:101]
	v_mul_f64 v[252:253], v[116:117], s[36:37]
	v_fma_f64 v[84:85], s[10:11], v[242:243], v[90:91]
	v_add_f64 v[86:87], v[86:87], v[96:97]
	v_mul_f64 v[114:115], v[118:119], s[44:45]
	v_fma_f64 v[254:255], v[138:139], s[38:39], -v[252:253]
	v_fma_f64 v[110:111], v[148:149], s[38:39], -v[110:111]
	v_add_f64 v[84:85], v[84:85], v[86:87]
	v_mul_f64 v[112:113], v[182:183], s[24:25]
	v_fma_f64 v[86:87], v[150:151], s[12:13], -v[114:115]
	v_add_f64 v[254:255], v[16:17], v[254:255]
	v_fma_f64 v[106:107], v[160:161], s[12:13], -v[106:107]
	v_add_f64 v[110:111], v[18:19], v[110:111]
	v_mul_f64 v[108:109], v[218:219], s[54:55]
	v_add_f64 v[86:87], v[86:87], v[254:255]
	v_fma_f64 v[254:255], v[156:157], s[18:19], -v[112:113]
	v_fma_f64 v[102:103], v[174:175], s[18:19], -v[102:103]
	v_add_f64 v[106:107], v[106:107], v[110:111]
	v_mul_f64 v[104:105], v[226:227], s[16:17]
	v_add_f64 v[86:87], v[254:255], v[86:87]
	v_fma_f64 v[254:255], v[170:171], s[34:35], -v[108:109]
	;; [unrolled: 5-line block ×5, first 2 shown]
	v_fma_f64 v[90:91], v[242:243], s[10:11], -v[90:91]
	v_add_f64 v[92:93], v[92:93], v[94:95]
	v_add_f64 v[254:255], v[254:255], v[86:87]
	v_fma_f64 v[86:87], s[26:27], v[246:247], v[88:89]
	v_fma_f64 v[88:89], v[246:247], s[26:27], -v[88:89]
	v_add_f64 v[90:91], v[90:91], v[92:93]
	v_fmac_f64_e32 v[252:253], s[38:39], v[138:139]
	v_add_f64 v[90:91], v[88:89], v[90:91]
	v_fmac_f64_e32 v[114:115], s[12:13], v[150:151]
	;; [unrolled: 2-line block ×6, first 2 shown]
	v_add_f64 v[88:89], v[104:105], v[88:89]
	v_mul_f64 v[126:127], v[248:249], s[28:29]
	v_fmac_f64_e32 v[96:97], s[10:11], v[186:187]
	v_add_f64 v[88:89], v[100:101], v[88:89]
	v_add_f64 v[86:87], v[86:87], v[84:85]
	v_fma_f64 v[84:85], v[202:203], s[26:27], -v[126:127]
	v_fmac_f64_e32 v[126:127], s[26:27], v[202:203]
	v_add_f64 v[88:89], v[96:97], v[88:89]
	v_add_f64 v[88:89], v[126:127], v[88:89]
	v_mul_f64 v[126:127], v[142:143], s[30:31]
	v_mul_f64 v[112:113], v[152:153], s[46:47]
	v_fma_f64 v[252:253], s[34:35], v[148:149], v[126:127]
	v_mul_f64 v[108:109], v[158:159], s[16:17]
	v_fma_f64 v[114:115], s[26:27], v[160:161], v[112:113]
	v_add_f64 v[252:253], v[18:19], v[252:253]
	v_mul_f64 v[104:105], v[176:177], s[36:37]
	v_fma_f64 v[110:111], s[4:5], v[174:175], v[108:109]
	v_add_f64 v[114:115], v[114:115], v[252:253]
	v_fma_f64 v[126:127], v[148:149], s[34:35], -v[126:127]
	v_mul_f64 v[100:101], v[178:179], s[56:57]
	v_fma_f64 v[106:107], s[38:39], v[206:207], v[104:105]
	v_add_f64 v[110:111], v[110:111], v[114:115]
	v_fma_f64 v[112:113], v[160:161], s[26:27], -v[112:113]
	v_add_f64 v[126:127], v[18:19], v[126:127]
	v_mul_f64 v[98:99], v[196:197], s[14:15]
	v_fma_f64 v[102:103], s[18:19], v[222:223], v[100:101]
	v_add_f64 v[106:107], v[106:107], v[110:111]
	v_add_f64 v[112:113], v[112:113], v[126:127]
	v_fma_f64 v[108:109], v[174:175], s[4:5], -v[108:109]
	v_mul_f64 v[96:97], v[194:195], s[50:51]
	v_fma_f64 v[94:95], s[10:11], v[238:239], v[98:99]
	v_add_f64 v[102:103], v[102:103], v[106:107]
	v_mul_f64 v[114:115], v[116:117], s[30:31]
	v_add_f64 v[108:109], v[108:109], v[112:113]
	v_fma_f64 v[104:105], v[206:207], s[38:39], -v[104:105]
	v_fma_f64 v[92:93], s[40:41], v[242:243], v[96:97]
	v_add_f64 v[94:95], v[94:95], v[102:103]
	v_mul_f64 v[110:111], v[118:119], s[46:47]
	v_fma_f64 v[252:253], v[138:139], s[34:35], -v[114:115]
	v_add_f64 v[104:105], v[104:105], v[108:109]
	v_fma_f64 v[100:101], v[222:223], s[18:19], -v[100:101]
	v_add_f64 v[92:93], v[92:93], v[94:95]
	v_mul_f64 v[106:107], v[182:183], s[16:17]
	v_fma_f64 v[94:95], v[150:151], s[26:27], -v[110:111]
	v_add_f64 v[252:253], v[16:17], v[252:253]
	v_add_f64 v[100:101], v[100:101], v[104:105]
	v_fma_f64 v[98:99], v[238:239], s[10:11], -v[98:99]
	v_mul_f64 v[102:103], v[218:219], s[36:37]
	v_add_f64 v[94:95], v[94:95], v[252:253]
	v_fma_f64 v[252:253], v[156:157], s[4:5], -v[106:107]
	v_mul_f64 v[132:133], v[216:217], s[44:45]
	v_fma_f64 v[96:97], v[242:243], s[40:41], -v[96:97]
	v_add_f64 v[98:99], v[98:99], v[100:101]
	v_add_f64 v[94:95], v[252:253], v[94:95]
	v_fma_f64 v[252:253], v[170:171], s[38:39], -v[102:103]
	v_fma_f64 v[104:105], v[246:247], s[12:13], -v[132:133]
	v_add_f64 v[96:97], v[96:97], v[98:99]
	v_fmac_f64_e32 v[114:115], s[34:35], v[138:139]
	v_add_f64 v[94:95], v[252:253], v[94:95]
	v_mul_f64 v[252:253], v[226:227], s[56:57]
	v_add_f64 v[98:99], v[104:105], v[96:97]
	v_fmac_f64_e32 v[110:111], s[26:27], v[150:151]
	v_add_f64 v[96:97], v[16:17], v[114:115]
	v_add_f64 v[84:85], v[84:85], v[254:255]
	v_fma_f64 v[254:255], v[168:169], s[18:19], -v[252:253]
	v_fmac_f64_e32 v[106:107], s[4:5], v[156:157]
	v_add_f64 v[96:97], v[110:111], v[96:97]
	v_add_f64 v[94:95], v[254:255], v[94:95]
	v_mul_f64 v[254:255], v[240:241], s[14:15]
	v_fmac_f64_e32 v[102:103], s[38:39], v[170:171]
	v_add_f64 v[96:97], v[106:107], v[96:97]
	v_fma_f64 v[128:129], v[190:191], s[10:11], -v[254:255]
	v_fmac_f64_e32 v[252:253], s[18:19], v[168:169]
	v_add_f64 v[96:97], v[102:103], v[96:97]
	v_add_f64 v[94:95], v[128:129], v[94:95]
	v_mul_f64 v[128:129], v[244:245], s[50:51]
	v_fmac_f64_e32 v[254:255], s[10:11], v[190:191]
	v_add_f64 v[96:97], v[252:253], v[96:97]
	v_fma_f64 v[130:131], v[186:187], s[40:41], -v[128:129]
	v_fmac_f64_e32 v[128:129], s[40:41], v[186:187]
	v_add_f64 v[96:97], v[254:255], v[96:97]
	v_mul_f64 v[126:127], v[142:143], s[28:29]
	v_add_f64 v[96:97], v[128:129], v[96:97]
	v_mul_f64 v[114:115], v[152:153], s[42:43]
	v_fma_f64 v[128:129], s[26:27], v[148:149], v[126:127]
	v_mul_f64 v[112:113], v[158:159], s[52:53]
	v_fma_f64 v[102:103], s[38:39], v[160:161], v[114:115]
	v_add_f64 v[128:129], v[18:19], v[128:129]
	v_mul_f64 v[110:111], v[176:177], s[22:23]
	v_add_f64 v[102:103], v[102:103], v[128:129]
	v_fma_f64 v[128:129], s[10:11], v[174:175], v[112:113]
	v_mul_f64 v[108:109], v[178:179], s[50:51]
	v_add_f64 v[102:103], v[128:129], v[102:103]
	v_fma_f64 v[128:129], s[12:13], v[206:207], v[110:111]
	;; [unrolled: 3-line block ×3, first 2 shown]
	v_add_f64 v[130:131], v[130:131], v[94:95]
	v_fma_f64 v[94:95], s[12:13], v[246:247], v[132:133]
	v_mul_f64 v[134:135], v[248:249], s[44:45]
	v_mul_f64 v[104:105], v[194:195], s[16:17]
	v_add_f64 v[102:103], v[128:129], v[102:103]
	v_fma_f64 v[128:129], s[18:19], v[238:239], v[106:107]
	v_add_f64 v[94:95], v[94:95], v[92:93]
	v_fma_f64 v[92:93], v[202:203], s[12:13], -v[134:135]
	v_fma_f64 v[100:101], s[4:5], v[242:243], v[104:105]
	v_add_f64 v[102:103], v[128:129], v[102:103]
	v_mul_f64 v[128:129], v[116:117], s[28:29]
	v_add_f64 v[92:93], v[92:93], v[130:131]
	v_add_f64 v[100:101], v[100:101], v[102:103]
	v_fma_f64 v[102:103], v[138:139], s[26:27], -v[128:129]
	v_mul_f64 v[130:131], v[118:119], s[42:43]
	v_add_f64 v[102:103], v[16:17], v[102:103]
	v_fma_f64 v[132:133], v[150:151], s[38:39], -v[130:131]
	v_fmac_f64_e32 v[134:135], s[12:13], v[202:203]
	v_add_f64 v[102:103], v[132:133], v[102:103]
	v_mul_f64 v[132:133], v[182:183], s[52:53]
	v_add_f64 v[96:97], v[134:135], v[96:97]
	v_fma_f64 v[134:135], v[156:157], s[10:11], -v[132:133]
	v_add_f64 v[102:103], v[134:135], v[102:103]
	v_mul_f64 v[134:135], v[218:219], s[22:23]
	v_fma_f64 v[252:253], v[170:171], s[12:13], -v[134:135]
	v_add_f64 v[102:103], v[252:253], v[102:103]
	v_mul_f64 v[252:253], v[226:227], s[50:51]
	v_fma_f64 v[254:255], v[168:169], s[40:41], -v[252:253]
	v_accvgpr_write_b32 a4, v76
	v_add_f64 v[102:103], v[254:255], v[102:103]
	v_mul_f64 v[254:255], v[240:241], s[56:57]
	v_accvgpr_write_b32 a5, v77
	v_accvgpr_write_b32 a6, v78
	;; [unrolled: 1-line block ×3, first 2 shown]
	v_fma_f64 v[76:77], v[190:191], s[18:19], -v[254:255]
	v_mul_f64 v[78:79], v[244:245], s[16:17]
	v_add_f64 v[76:77], v[76:77], v[102:103]
	v_fma_f64 v[102:103], v[186:187], s[4:5], -v[78:79]
	v_mul_f64 v[136:137], v[216:217], s[30:31]
	v_add_f64 v[76:77], v[102:103], v[76:77]
	v_fma_f64 v[102:103], s[34:35], v[246:247], v[136:137]
	v_mul_f64 v[140:141], v[248:249], s[30:31]
	v_add_f64 v[102:103], v[102:103], v[100:101]
	v_fma_f64 v[100:101], v[202:203], s[34:35], -v[140:141]
	v_add_f64 v[100:101], v[100:101], v[76:77]
	v_fma_f64 v[76:77], v[160:161], s[38:39], -v[114:115]
	v_fma_f64 v[114:115], v[148:149], s[26:27], -v[126:127]
	v_add_f64 v[114:115], v[18:19], v[114:115]
	v_add_f64 v[76:77], v[76:77], v[114:115]
	v_fma_f64 v[112:113], v[174:175], s[10:11], -v[112:113]
	v_add_f64 v[76:77], v[112:113], v[76:77]
	v_fma_f64 v[110:111], v[206:207], s[12:13], -v[110:111]
	;; [unrolled: 2-line block ×5, first 2 shown]
	v_fmac_f64_e32 v[128:129], s[26:27], v[138:139]
	v_add_f64 v[76:77], v[104:105], v[76:77]
	v_fmac_f64_e32 v[130:131], s[38:39], v[150:151]
	v_add_f64 v[104:105], v[16:17], v[128:129]
	v_add_f64 v[104:105], v[130:131], v[104:105]
	v_fmac_f64_e32 v[132:133], s[10:11], v[156:157]
	v_add_f64 v[104:105], v[132:133], v[104:105]
	v_fma_f64 v[106:107], v[246:247], s[34:35], -v[136:137]
	v_fmac_f64_e32 v[134:135], s[12:13], v[170:171]
	v_add_f64 v[106:107], v[106:107], v[76:77]
	v_fmac_f64_e32 v[252:253], s[40:41], v[168:169]
	v_add_f64 v[76:77], v[134:135], v[104:105]
	;; [unrolled: 2-line block ×3, first 2 shown]
	v_mul_f64 v[114:115], v[142:143], s[24:25]
	v_fmac_f64_e32 v[78:79], s[4:5], v[186:187]
	v_add_f64 v[76:77], v[254:255], v[76:77]
	v_mul_f64 v[112:113], v[152:153], s[50:51]
	v_fma_f64 v[110:111], s[18:19], v[148:149], v[114:115]
	v_fmac_f64_e32 v[140:141], s[34:35], v[202:203]
	v_add_f64 v[76:77], v[78:79], v[76:77]
	v_mul_f64 v[78:79], v[158:159], s[46:47]
	v_fma_f64 v[108:109], s[40:41], v[160:161], v[112:113]
	v_add_f64 v[110:111], v[18:19], v[110:111]
	v_add_f64 v[104:105], v[140:141], v[76:77]
	v_mul_f64 v[76:77], v[176:177], s[48:49]
	v_add_f64 v[108:109], v[108:109], v[110:111]
	v_fma_f64 v[110:111], s[26:27], v[174:175], v[78:79]
	v_add_f64 v[108:109], v[110:111], v[108:109]
	v_fma_f64 v[110:111], s[4:5], v[206:207], v[76:77]
	v_mul_f64 v[126:127], v[178:179], s[22:23]
	v_add_f64 v[108:109], v[110:111], v[108:109]
	v_fma_f64 v[110:111], s[12:13], v[222:223], v[126:127]
	v_mul_f64 v[128:129], v[196:197], s[36:37]
	;; [unrolled: 3-line block ×4, first 2 shown]
	v_add_f64 v[108:109], v[110:111], v[108:109]
	v_fma_f64 v[110:111], v[138:139], s[18:19], -v[132:133]
	v_mul_f64 v[134:135], v[118:119], s[50:51]
	v_add_f64 v[110:111], v[16:17], v[110:111]
	v_fma_f64 v[136:137], v[150:151], s[40:41], -v[134:135]
	v_add_f64 v[110:111], v[136:137], v[110:111]
	v_mul_f64 v[136:137], v[182:183], s[46:47]
	v_fma_f64 v[140:141], v[156:157], s[26:27], -v[136:137]
	v_add_f64 v[110:111], v[140:141], v[110:111]
	v_mul_f64 v[140:141], v[218:219], s[48:49]
	v_fma_f64 v[252:253], v[170:171], s[4:5], -v[140:141]
	v_add_f64 v[110:111], v[252:253], v[110:111]
	v_mul_f64 v[252:253], v[226:227], s[22:23]
	v_fma_f64 v[254:255], v[168:169], s[12:13], -v[252:253]
	v_add_f64 v[110:111], v[254:255], v[110:111]
	v_mul_f64 v[254:255], v[240:241], s[36:37]
	v_fma_f64 v[80:81], v[190:191], s[38:39], -v[254:255]
	v_mul_f64 v[82:83], v[244:245], s[54:55]
	v_add_f64 v[80:81], v[80:81], v[110:111]
	v_fma_f64 v[110:111], v[186:187], s[34:35], -v[82:83]
	v_mul_f64 v[144:145], v[216:217], s[52:53]
	v_add_f64 v[80:81], v[110:111], v[80:81]
	v_fma_f64 v[110:111], s[10:11], v[246:247], v[144:145]
	v_mul_f64 v[146:147], v[248:249], s[52:53]
	v_add_f64 v[110:111], v[110:111], v[108:109]
	v_fma_f64 v[108:109], v[202:203], s[10:11], -v[146:147]
	v_add_f64 v[108:109], v[108:109], v[80:81]
	v_fma_f64 v[80:81], v[160:161], s[40:41], -v[112:113]
	v_fma_f64 v[112:113], v[148:149], s[18:19], -v[114:115]
	v_add_f64 v[112:113], v[18:19], v[112:113]
	v_add_f64 v[80:81], v[80:81], v[112:113]
	v_fma_f64 v[78:79], v[174:175], s[26:27], -v[78:79]
	v_add_f64 v[78:79], v[78:79], v[80:81]
	v_fma_f64 v[76:77], v[206:207], s[4:5], -v[76:77]
	;; [unrolled: 2-line block ×5, first 2 shown]
	v_fmac_f64_e32 v[132:133], s[18:19], v[138:139]
	v_add_f64 v[76:77], v[78:79], v[76:77]
	v_fmac_f64_e32 v[134:135], s[40:41], v[150:151]
	v_add_f64 v[78:79], v[16:17], v[132:133]
	v_add_f64 v[78:79], v[134:135], v[78:79]
	v_fmac_f64_e32 v[136:137], s[26:27], v[156:157]
	v_add_f64 v[78:79], v[136:137], v[78:79]
	v_fmac_f64_e32 v[140:141], s[4:5], v[170:171]
	;; [unrolled: 2-line block ×5, first 2 shown]
	v_fma_f64 v[80:81], v[246:247], s[10:11], -v[144:145]
	v_add_f64 v[78:79], v[82:83], v[78:79]
	v_add_f64 v[114:115], v[80:81], v[76:77]
	v_fmac_f64_e32 v[146:147], s[10:11], v[202:203]
	v_mul_f64 v[76:77], v[142:143], s[22:23]
	v_add_f64 v[112:113], v[146:147], v[78:79]
	v_fma_f64 v[78:79], s[12:13], v[148:149], v[76:77]
	v_mul_f64 v[80:81], v[152:153], s[30:31]
	v_add_f64 v[78:79], v[18:19], v[78:79]
	v_fma_f64 v[82:83], s[34:35], v[160:161], v[80:81]
	v_add_f64 v[78:79], v[82:83], v[78:79]
	v_mul_f64 v[82:83], v[176:177], s[50:51]
	v_mul_f64 v[126:127], v[216:217], s[50:51]
	s_mov_b32 s51, 0x3fc7851a
	v_mul_f64 v[128:129], v[158:159], s[50:51]
	v_fma_f64 v[130:131], s[40:41], v[174:175], v[128:129]
	v_add_f64 v[78:79], v[130:131], v[78:79]
	v_mul_f64 v[130:131], v[176:177], s[46:47]
	v_fma_f64 v[132:133], s[26:27], v[206:207], v[130:131]
	v_add_f64 v[78:79], v[132:133], v[78:79]
	;; [unrolled: 3-line block ×4, first 2 shown]
	v_mul_f64 v[136:137], v[194:195], s[24:25]
	v_fma_f64 v[140:141], s[18:19], v[242:243], v[136:137]
	v_mul_f64 v[144:145], v[116:117], s[22:23]
	v_add_f64 v[78:79], v[140:141], v[78:79]
	v_mul_f64 v[140:141], v[118:119], s[30:31]
	v_fma_f64 v[116:117], v[138:139], s[12:13], -v[144:145]
	v_fma_f64 v[76:77], v[148:149], s[12:13], -v[76:77]
	v_add_f64 v[116:117], v[16:17], v[116:117]
	v_fma_f64 v[118:119], v[150:151], s[34:35], -v[140:141]
	v_mul_f64 v[146:147], v[182:183], s[50:51]
	v_fma_f64 v[80:81], v[160:161], s[34:35], -v[80:81]
	v_add_f64 v[76:77], v[18:19], v[76:77]
	v_add_f64 v[116:117], v[118:119], v[116:117]
	v_fma_f64 v[118:119], v[156:157], s[40:41], -v[146:147]
	v_mul_f64 v[182:183], v[218:219], s[46:47]
	v_fma_f64 v[128:129], v[174:175], s[40:41], -v[128:129]
	v_add_f64 v[76:77], v[80:81], v[76:77]
	v_fmac_f64_e32 v[144:145], s[12:13], v[138:139]
	v_add_f64 v[116:117], v[118:119], v[116:117]
	v_fma_f64 v[118:119], v[170:171], s[26:27], -v[182:183]
	v_mul_f64 v[218:219], v[226:227], s[52:53]
	v_fma_f64 v[130:131], v[206:207], s[26:27], -v[130:131]
	v_add_f64 v[76:77], v[128:129], v[76:77]
	v_fmac_f64_e32 v[140:141], s[34:35], v[150:151]
	v_add_f64 v[144:145], v[16:17], v[144:145]
	v_add_f64 v[116:117], v[118:119], v[116:117]
	v_fma_f64 v[118:119], v[168:169], s[10:11], -v[218:219]
	v_mul_f64 v[226:227], v[240:241], s[16:17]
	v_fma_f64 v[132:133], v[222:223], s[10:11], -v[132:133]
	v_add_f64 v[76:77], v[130:131], v[76:77]
	v_add_f64 v[140:141], v[140:141], v[144:145]
	v_fmac_f64_e32 v[146:147], s[40:41], v[156:157]
	v_add_f64 v[116:117], v[118:119], v[116:117]
	v_fma_f64 v[118:119], v[190:191], s[4:5], -v[226:227]
	v_mul_f64 v[240:241], v[244:245], s[24:25]
	v_fma_f64 v[134:135], v[238:239], s[4:5], -v[134:135]
	v_add_f64 v[76:77], v[132:133], v[76:77]
	v_mul_f64 v[132:133], v[142:143], s[14:15]
	v_add_f64 v[140:141], v[146:147], v[140:141]
	v_fmac_f64_e32 v[182:183], s[26:27], v[170:171]
	v_add_f64 v[116:117], v[118:119], v[116:117]
	v_fma_f64 v[118:119], v[186:187], s[18:19], -v[240:241]
	v_mul_f64 v[244:245], v[216:217], s[36:37]
	v_fma_f64 v[136:137], v[242:243], s[18:19], -v[136:137]
	v_mul_f64 v[128:129], v[142:143], s[16:17]
	v_add_f64 v[76:77], v[134:135], v[76:77]
	v_mul_f64 v[130:131], v[138:139], s[10:11]
	v_mul_f64 v[142:143], v[152:153], s[24:25]
	v_add_f64 v[140:141], v[182:183], v[140:141]
	v_fmac_f64_e32 v[218:219], s[10:11], v[168:169]
	v_add_f64 v[132:133], v[204:205], -v[132:133]
	v_add_f64 v[116:117], v[118:119], v[116:117]
	v_fma_f64 v[118:119], s[38:39], v[246:247], v[244:245]
	v_mul_f64 v[80:81], v[138:139], s[4:5]
	v_add_f64 v[76:77], v[136:137], v[76:77]
	v_mul_f64 v[136:137], v[152:153], s[14:15]
	v_mul_f64 v[138:139], v[150:151], s[18:19]
	;; [unrolled: 1-line block ×5, first 2 shown]
	v_add_f64 v[140:141], v[218:219], v[140:141]
	v_fmac_f64_e32 v[226:227], s[4:5], v[190:191]
	v_add_f64 v[142:143], v[208:209], -v[142:143]
	v_add_f64 v[132:133], v[18:19], v[132:133]
	v_add_f64 v[130:131], v[130:131], v[188:189]
	;; [unrolled: 1-line block ×3, first 2 shown]
	v_mul_f64 v[78:79], v[248:249], s[36:37]
	v_add_f64 v[140:141], v[226:227], v[140:141]
	v_fmac_f64_e32 v[240:241], s[18:19], v[186:187]
	v_add_f64 v[156:157], v[212:213], -v[156:157]
	v_add_f64 v[132:133], v[142:143], v[132:133]
	v_add_f64 v[138:139], v[138:139], v[192:193]
	;; [unrolled: 1-line block ×3, first 2 shown]
	v_fma_f64 v[248:249], v[202:203], s[38:39], -v[78:79]
	v_mul_f64 v[146:147], v[158:159], s[22:23]
	v_mul_f64 v[158:159], v[178:179], s[42:43]
	v_add_f64 v[140:141], v[240:241], v[140:141]
	v_fmac_f64_e32 v[78:79], s[38:39], v[202:203]
	v_add_f64 v[82:83], v[220:221], -v[82:83]
	v_add_f64 v[132:133], v[156:157], v[132:133]
	v_add_f64 v[130:131], v[138:139], v[130:131]
	v_accvgpr_read_b32 v139, a21
	v_mul_f64 v[160:161], v[170:171], s[18:19]
	v_mul_f64 v[170:171], v[170:171], s[40:41]
	v_add_f64 v[148:149], v[78:79], v[140:141]
	v_mul_f64 v[140:141], v[196:197], s[46:47]
	v_add_f64 v[158:159], v[228:229], -v[158:159]
	v_add_f64 v[82:83], v[82:83], v[132:133]
	v_add_f64 v[152:153], v[152:153], v[198:199]
	v_accvgpr_read_b32 v138, a20
	v_mul_f64 v[174:175], v[176:177], s[24:25]
	v_mul_f64 v[176:177], v[168:169], s[26:27]
	;; [unrolled: 1-line block ×3, first 2 shown]
	v_add_f64 v[140:141], v[232:233], -v[140:141]
	v_add_f64 v[82:83], v[158:159], v[82:83]
	v_add_f64 v[142:143], v[170:171], v[200:201]
	;; [unrolled: 1-line block ×3, first 2 shown]
	v_add_f64 v[136:137], v[138:139], -v[136:137]
	v_accvgpr_read_b32 v139, a19
	v_add_f64 v[14:15], v[18:19], v[14:15]
	v_add_f64 v[12:13], v[16:17], v[12:13]
	v_mul_f64 v[78:79], v[190:191], s[26:27]
	v_add_f64 v[82:83], v[140:141], v[82:83]
	v_add_f64 v[140:141], v[168:169], v[210:211]
	;; [unrolled: 1-line block ×3, first 2 shown]
	v_accvgpr_read_b32 v138, a18
	v_add_f64 v[14:15], v[14:15], v[22:23]
	v_add_f64 v[12:13], v[12:13], v[20:21]
	v_mul_f64 v[182:183], v[178:179], s[28:29]
	v_mul_f64 v[178:179], v[190:191], s[34:35]
	;; [unrolled: 1-line block ×4, first 2 shown]
	v_add_f64 v[78:79], v[78:79], v[214:215]
	v_add_f64 v[130:131], v[140:141], v[130:131]
	v_add_f64 v[128:129], v[138:139], -v[128:129]
	v_add_f64 v[14:15], v[14:15], v[26:27]
	v_add_f64 v[12:13], v[12:13], v[24:25]
	;; [unrolled: 1-line block ×7, first 2 shown]
	v_fma_f64 v[244:245], v[246:247], s[38:39], -v[244:245]
	v_mul_f64 v[206:207], v[194:195], s[36:37]
	v_mul_f64 v[194:195], v[194:195], s[44:45]
	v_add_f64 v[78:79], v[132:133], v[78:79]
	v_accvgpr_read_b32 v133, a23
	v_add_f64 v[128:129], v[136:137], v[128:129]
	v_accvgpr_read_b32 v137, a11
	v_add_f64 v[14:15], v[14:15], v[46:47]
	v_add_f64 v[12:13], v[12:13], v[44:45]
	v_mul_f64 v[134:135], v[150:151], s[10:11]
	v_add_f64 v[150:151], v[244:245], v[76:77]
	v_mul_f64 v[76:77], v[196:197], s[30:31]
	v_mul_f64 v[196:197], v[216:217], s[48:49]
	v_add_f64 v[194:195], v[234:235], -v[194:195]
	v_accvgpr_read_b32 v131, a25
	v_accvgpr_read_b32 v132, a22
	;; [unrolled: 1-line block ×3, first 2 shown]
	v_add_f64 v[14:15], v[14:15], v[58:59]
	v_add_f64 v[12:13], v[12:13], v[56:57]
	v_add_f64 v[196:197], v[236:237], -v[196:197]
	v_mul_f64 v[216:217], v[202:203], s[40:41]
	v_mul_f64 v[202:203], v[202:203], s[4:5]
	v_add_f64 v[82:83], v[194:195], v[82:83]
	v_accvgpr_read_b32 v130, a24
	v_add_f64 v[132:133], v[132:133], -v[146:147]
	v_add_f64 v[134:135], v[134:135], v[136:137]
	v_accvgpr_read_b32 v137, a9
	v_add_f64 v[14:15], v[14:15], v[62:63]
	v_add_f64 v[12:13], v[12:13], v[60:61]
	;; [unrolled: 1-line block ×4, first 2 shown]
	v_add_f64 v[130:131], v[130:131], -v[174:175]
	v_add_f64 v[128:129], v[132:133], v[128:129]
	v_accvgpr_read_b32 v136, a8
	v_add_f64 v[14:15], v[14:15], v[70:71]
	v_add_f64 v[12:13], v[12:13], v[68:69]
	;; [unrolled: 1-line block ×3, first 2 shown]
	v_add_f64 v[78:79], v[184:185], -v[126:127]
	v_add_f64 v[126:127], v[154:155], -v[182:183]
	v_add_f64 v[128:129], v[130:131], v[128:129]
	v_accvgpr_read_b32 v133, a13
	v_add_f64 v[80:81], v[80:81], v[136:137]
	v_add_f64 v[14:15], v[14:15], v[74:75]
	;; [unrolled: 1-line block ×3, first 2 shown]
	v_add_f64 v[76:77], v[166:167], -v[76:77]
	v_add_f64 v[126:127], v[126:127], v[128:129]
	v_accvgpr_read_b32 v131, a15
	v_accvgpr_read_b32 v132, a12
	v_add_f64 v[80:81], v[16:17], v[80:81]
	v_add_f64 v[14:15], v[14:15], v[66:67]
	;; [unrolled: 1-line block ×4, first 2 shown]
	v_accvgpr_read_b32 v127, a17
	v_accvgpr_read_b32 v130, a14
	v_add_f64 v[132:133], v[144:145], v[132:133]
	v_add_f64 v[80:81], v[134:135], v[80:81]
	;; [unrolled: 1-line block ×4, first 2 shown]
	v_accvgpr_read_b32 v126, a16
	v_add_f64 v[130:131], v[160:161], v[130:131]
	v_add_f64 v[80:81], v[132:133], v[80:81]
	v_add_f64 v[14:15], v[14:15], v[50:51]
	v_add_f64 v[12:13], v[12:13], v[48:49]
	v_add_f64 v[82:83], v[172:173], -v[206:207]
	v_add_f64 v[126:127], v[176:177], v[126:127]
	v_add_f64 v[80:81], v[130:131], v[80:81]
	;; [unrolled: 1-line block ×18, first 2 shown]
	v_lshl_add_u32 v12, v122, 8, v250
	v_add_f64 v[116:117], v[248:249], v[116:117]
	v_add_f64 v[126:127], v[76:77], v[78:79]
	ds_write_b128 v12, v[8:11]
	ds_write_b128 v12, v[126:129] offset:16
	ds_write_b128 v12, v[156:159] offset:32
	;; [unrolled: 1-line block ×16, first 2 shown]
.LBB0_15:
	s_or_b64 exec, exec, s[20:21]
	s_load_dwordx2 s[4:5], s[2:3], 0x0
	s_movk_i32 s2, 0xf1
	v_mul_lo_u16_sdwa v9, v122, s2 dst_sel:DWORD dst_unused:UNUSED_PAD src0_sel:BYTE_0 src1_sel:DWORD
	v_lshrrev_b16_e32 v123, 12, v9
	v_mul_lo_u16_e32 v9, 17, v123
	v_sub_u16_e32 v132, v122, v9
	v_mov_b32_e32 v75, 5
	v_add_u32_e32 v73, 0x66, v122
	v_lshlrev_b32_sdwa v9, v75, v132 dst_sel:DWORD dst_unused:UNUSED_PAD src0_sel:DWORD src1_sel:BYTE_0
	s_waitcnt lgkmcnt(0)
	s_barrier
	global_load_dwordx4 v[12:15], v9, s[8:9] offset:16
	global_load_dwordx4 v[16:19], v9, s[8:9]
	v_mul_lo_u16_sdwa v9, v73, s2 dst_sel:DWORD dst_unused:UNUSED_PAD src0_sel:BYTE_0 src1_sel:DWORD
	v_lshrrev_b16_e32 v133, 12, v9
	v_mul_lo_u16_e32 v9, 17, v133
	v_sub_u16_e32 v134, v73, v9
	v_lshlrev_b32_sdwa v9, v75, v134 dst_sel:DWORD dst_unused:UNUSED_PAD src0_sel:DWORD src1_sel:BYTE_0
	v_add_u32_e32 v8, 0x198, v122
	global_load_dwordx4 v[44:47], v9, s[8:9] offset:16
	global_load_dwordx4 v[52:55], v9, s[8:9]
	s_mov_b32 s2, 0xf0f1
	v_mul_u32_u24_sdwa v9, v8, s2 dst_sel:DWORD dst_unused:UNUSED_PAD src0_sel:WORD_0 src1_sel:DWORD
	v_lshrrev_b32_e32 v135, 20, v9
	v_mul_lo_u16_e32 v9, 17, v135
	v_sub_u16_e32 v136, v8, v9
	v_lshlrev_b32_e32 v8, 5, v136
	global_load_dwordx4 v[56:59], v8, s[8:9]
	global_load_dwordx4 v[60:63], v8, s[8:9] offset:16
	v_add_u32_e32 v74, 0xcc, v122
	v_add_u32_e32 v72, 0x132, v122
	v_mul_u32_u24_sdwa v76, v74, s2 dst_sel:DWORD dst_unused:UNUSED_PAD src0_sel:WORD_0 src1_sel:DWORD
	v_mul_u32_u24_sdwa v77, v72, s2 dst_sel:DWORD dst_unused:UNUSED_PAD src0_sel:WORD_0 src1_sel:DWORD
	v_lshrrev_b32_e32 v137, 20, v76
	v_lshrrev_b32_e32 v138, 20, v77
	v_mul_lo_u16_e32 v76, 17, v137
	v_mul_lo_u16_e32 v77, 17, v138
	v_sub_u16_e32 v139, v74, v76
	v_lshl_add_u32 v78, v72, 4, 0
	v_sub_u16_e32 v140, v72, v77
	v_lshlrev_b32_e32 v76, 5, v139
	ds_read_b128 v[24:27], v250
	ds_read_b128 v[20:23], v250 offset:1632
	ds_read_b128 v[64:67], v250 offset:16320
	;; [unrolled: 1-line block ×11, first 2 shown]
	v_lshl_add_u32 v79, v74, 4, 0
	ds_read_b128 v[48:51], v78
	ds_read_b128 v[92:95], v79
	ds_read_b128 v[96:99], v250 offset:22848
	v_lshlrev_b32_e32 v77, 5, v140
	global_load_dwordx4 v[100:103], v76, s[8:9] offset:16
	global_load_dwordx4 v[104:107], v76, s[8:9]
	global_load_dwordx4 v[108:111], v77, s[8:9] offset:16
                                        ; kill: killed $vgpr76
	global_load_dwordx4 v[112:115], v77, s[8:9]
	s_mov_b32 s10, 0xe8584caa
	s_mov_b32 s11, 0xbfebb67a
	;; [unrolled: 1-line block ×5, first 2 shown]
	s_movk_i32 s12, 0x330
	s_waitcnt lgkmcnt(0)
	s_barrier
	v_cmp_gt_u32_e32 vcc, 51, v122
	s_waitcnt vmcnt(9)
	v_mul_f64 v[116:117], v[66:67], v[14:15]
	s_waitcnt vmcnt(8)
	v_mul_f64 v[76:77], v[86:87], v[18:19]
	v_mul_f64 v[18:19], v[84:85], v[18:19]
	;; [unrolled: 1-line block ×3, first 2 shown]
	v_fmac_f64_e32 v[76:77], v[84:85], v[16:17]
	v_fmac_f64_e32 v[116:117], v[64:65], v[12:13]
	v_fma_f64 v[16:17], v[86:87], v[16:17], -v[18:19]
	s_waitcnt vmcnt(7)
	v_mul_f64 v[126:127], v[70:71], v[46:47]
	v_mul_f64 v[46:47], v[68:69], v[46:47]
	v_fma_f64 v[12:13], v[66:67], v[12:13], -v[14:15]
	v_fma_f64 v[18:19], v[70:71], v[44:45], -v[46:47]
	v_add_f64 v[46:47], v[76:77], v[116:117]
	s_waitcnt vmcnt(6)
	v_mul_f64 v[118:119], v[82:83], v[54:55]
	v_mul_f64 v[54:55], v[80:81], v[54:55]
	v_fmac_f64_e32 v[126:127], v[68:69], v[44:45]
	v_add_f64 v[44:45], v[24:25], v[76:77]
	v_fmac_f64_e32 v[24:25], -0.5, v[46:47]
	v_add_f64 v[46:47], v[16:17], -v[12:13]
	v_fmac_f64_e32 v[118:119], v[80:81], v[52:53]
	v_fma_f64 v[14:15], v[82:83], v[52:53], -v[54:55]
	v_fma_f64 v[52:53], s[10:11], v[46:47], v[24:25]
	v_fmac_f64_e32 v[24:25], s[2:3], v[46:47]
	v_add_f64 v[46:47], v[26:27], v[16:17]
	v_add_f64 v[46:47], v[46:47], v[12:13]
	;; [unrolled: 1-line block ×3, first 2 shown]
	v_fmac_f64_e32 v[26:27], -0.5, v[12:13]
	v_add_f64 v[12:13], v[76:77], -v[116:117]
	s_waitcnt vmcnt(5)
	v_mul_f64 v[128:129], v[90:91], v[58:59]
	v_mul_f64 v[58:59], v[88:89], v[58:59]
	v_fma_f64 v[54:55], s[2:3], v[12:13], v[26:27]
	v_fmac_f64_e32 v[26:27], s[10:11], v[12:13]
	v_add_f64 v[12:13], v[20:21], v[118:119]
	v_fmac_f64_e32 v[128:129], v[88:89], v[56:57]
	v_fma_f64 v[64:65], v[90:91], v[56:57], -v[58:59]
	v_add_f64 v[56:57], v[12:13], v[126:127]
	v_add_f64 v[12:13], v[118:119], v[126:127]
	s_waitcnt vmcnt(4)
	v_mul_f64 v[130:131], v[98:99], v[62:63]
	v_mul_f64 v[62:63], v[96:97], v[62:63]
	v_fmac_f64_e32 v[20:21], -0.5, v[12:13]
	v_add_f64 v[12:13], v[14:15], -v[18:19]
	v_fmac_f64_e32 v[130:131], v[96:97], v[60:61]
	v_fma_f64 v[66:67], v[98:99], v[60:61], -v[62:63]
	v_fma_f64 v[60:61], s[10:11], v[12:13], v[20:21]
	v_fmac_f64_e32 v[20:21], s[2:3], v[12:13]
	v_add_f64 v[12:13], v[22:23], v[14:15]
	v_add_f64 v[58:59], v[12:13], v[18:19]
	v_add_f64 v[12:13], v[14:15], v[18:19]
	v_fmac_f64_e32 v[22:23], -0.5, v[12:13]
	v_add_f64 v[12:13], v[118:119], -v[126:127]
	v_fma_f64 v[62:63], s[2:3], v[12:13], v[22:23]
	v_fmac_f64_e32 v[22:23], s[10:11], v[12:13]
	v_add_f64 v[12:13], v[8:9], v[128:129]
	v_add_f64 v[16:17], v[12:13], v[130:131]
	v_add_f64 v[12:13], v[128:129], v[130:131]
	v_fmac_f64_e32 v[8:9], -0.5, v[12:13]
	v_add_f64 v[14:15], v[64:65], -v[66:67]
	;; [unrolled: 7-line block ×3, first 2 shown]
	v_mov_b32_e32 v80, 4
	v_fma_f64 v[14:15], s[2:3], v[64:65], v[10:11]
	v_fmac_f64_e32 v[10:11], s[10:11], v[64:65]
	v_mul_u32_u24_e32 v64, 0x330, v123
	v_lshlrev_b32_sdwa v65, v80, v132 dst_sel:DWORD dst_unused:UNUSED_PAD src0_sel:DWORD src1_sel:BYTE_0
	v_add3_u32 v81, 0, v64, v65
	v_mul_u32_u24_e32 v64, 0x330, v133
	v_lshlrev_b32_sdwa v65, v80, v134 dst_sel:DWORD dst_unused:UNUSED_PAD src0_sel:DWORD src1_sel:BYTE_0
	v_add3_u32 v82, 0, v64, v65
	s_waitcnt vmcnt(2)
	v_mul_f64 v[64:65], v[42:43], v[106:107]
	v_fmac_f64_e32 v[64:65], v[40:41], v[104:105]
	v_mul_f64 v[40:41], v[40:41], v[106:107]
	v_fma_f64 v[40:41], v[42:43], v[104:105], -v[40:41]
	v_mul_f64 v[42:43], v[38:39], v[102:103]
	s_waitcnt vmcnt(1)
	v_mul_f64 v[70:71], v[30:31], v[110:111]
	v_fmac_f64_e32 v[42:43], v[36:37], v[100:101]
	v_mul_f64 v[36:37], v[36:37], v[102:103]
	v_fmac_f64_e32 v[70:71], v[28:29], v[108:109]
	v_mul_f64 v[28:29], v[28:29], v[110:111]
	v_add_f64 v[44:45], v[44:45], v[116:117]
	v_fma_f64 v[36:37], v[38:39], v[100:101], -v[36:37]
	s_waitcnt vmcnt(0)
	v_mul_f64 v[66:67], v[34:35], v[114:115]
	v_fma_f64 v[76:77], v[30:31], v[108:109], -v[28:29]
	v_add_f64 v[30:31], v[64:65], v[42:43]
	v_fmac_f64_e32 v[66:67], v[32:33], v[112:113]
	v_mul_f64 v[32:33], v[32:33], v[114:115]
	v_add_f64 v[28:29], v[92:93], v[64:65]
	v_fmac_f64_e32 v[92:93], -0.5, v[30:31]
	v_add_f64 v[30:31], v[40:41], -v[36:37]
	ds_write_b128 v81, v[44:47]
	ds_write_b128 v81, v[52:55] offset:272
	ds_write_b128 v81, v[24:27] offset:544
	ds_write_b128 v82, v[56:59]
	ds_write_b128 v82, v[60:63] offset:272
	ds_write_b128 v82, v[20:23] offset:544
	v_perm_b32 v20, v138, v137, s13
	v_fma_f64 v[68:69], v[34:35], v[112:113], -v[32:33]
	v_fma_f64 v[32:33], s[10:11], v[30:31], v[92:93]
	v_fmac_f64_e32 v[92:93], s[2:3], v[30:31]
	v_add_f64 v[30:31], v[94:95], v[40:41]
	v_add_f64 v[34:35], v[40:41], v[36:37]
	v_pk_mul_lo_u16 v20, v20, s12 op_sel_hi:[1,0]
	v_add_f64 v[30:31], v[30:31], v[36:37]
	v_fmac_f64_e32 v[94:95], -0.5, v[34:35]
	v_add_f64 v[36:37], v[64:65], -v[42:43]
	v_add_f64 v[38:39], v[66:67], v[70:71]
	v_and_b32_e32 v21, 0xfff0, v20
	v_lshlrev_b32_e32 v22, 4, v139
	v_add_f64 v[28:29], v[28:29], v[42:43]
	v_fma_f64 v[34:35], s[2:3], v[36:37], v[94:95]
	v_fmac_f64_e32 v[94:95], s[10:11], v[36:37]
	v_add_f64 v[36:37], v[48:49], v[66:67]
	v_fmac_f64_e32 v[48:49], -0.5, v[38:39]
	v_add_f64 v[38:39], v[68:69], -v[76:77]
	v_add3_u32 v21, 0, v21, v22
	v_fma_f64 v[40:41], s[10:11], v[38:39], v[48:49]
	v_fmac_f64_e32 v[48:49], s[2:3], v[38:39]
	v_add_f64 v[38:39], v[50:51], v[68:69]
	v_add_f64 v[42:43], v[68:69], v[76:77]
	ds_write_b128 v21, v[28:31]
	ds_write_b128 v21, v[32:35] offset:272
	ds_write_b128 v21, v[92:95] offset:544
	v_lshrrev_b32_e32 v20, 16, v20
	v_lshlrev_b32_e32 v21, 4, v140
	v_add_f64 v[36:37], v[36:37], v[70:71]
	v_add_f64 v[38:39], v[38:39], v[76:77]
	v_fmac_f64_e32 v[50:51], -0.5, v[42:43]
	v_add_f64 v[64:65], v[66:67], -v[70:71]
	v_add3_u32 v20, 0, v20, v21
	v_fma_f64 v[42:43], s[2:3], v[64:65], v[50:51]
	v_fmac_f64_e32 v[50:51], s[10:11], v[64:65]
	ds_write_b128 v20, v[36:39]
	ds_write_b128 v20, v[40:43] offset:272
	ds_write_b128 v20, v[48:51] offset:544
	v_mul_u32_u24_e32 v20, 0x330, v135
	v_lshlrev_b32_e32 v21, 4, v136
	v_add3_u32 v20, 0, v20, v21
	ds_write_b128 v20, v[16:19]
	ds_write_b128 v20, v[12:15] offset:272
	ds_write_b128 v20, v[8:11] offset:544
	s_waitcnt lgkmcnt(0)
	s_barrier
	ds_read_b128 v[28:31], v250
	ds_read_b128 v[24:27], v250 offset:1632
	ds_read_b128 v[52:55], v250 offset:4080
	ds_read_b128 v[32:35], v250 offset:5712
	ds_read_b128 v[56:59], v250 offset:8160
	ds_read_b128 v[36:39], v250 offset:9792
	ds_read_b128 v[60:63], v250 offset:12240
	ds_read_b128 v[40:43], v250 offset:13872
	ds_read_b128 v[64:67], v250 offset:16320
	ds_read_b128 v[44:47], v250 offset:17952
	ds_read_b128 v[68:71], v250 offset:20400
	ds_read_b128 v[48:51], v250 offset:22032
                                        ; implicit-def: $vgpr22_vgpr23
	s_and_saveexec_b64 s[12:13], vcc
	s_cbranch_execz .LBB0_17
; %bb.16:
	ds_read_b128 v[12:15], v250 offset:7344
	ds_read_b128 v[8:11], v250 offset:11424
	;; [unrolled: 1-line block ×4, first 2 shown]
	ds_read_b128 v[16:19], v79
	ds_read_b128 v[20:23], v250 offset:23664
.LBB0_17:
	s_or_b64 exec, exec, s[12:13]
	v_subrev_u32_e32 v76, 51, v122
	v_cndmask_b32_e32 v81, v76, v122, vcc
	v_mul_i32_i24_e32 v76, 5, v81
	v_mov_b32_e32 v77, 0
	s_movk_i32 s12, 0xa1
	v_lshl_add_u64 v[102:103], v[76:77], 4, s[8:9]
	v_mul_lo_u16_sdwa v76, v73, s12 dst_sel:DWORD dst_unused:UNUSED_PAD src0_sel:BYTE_0 src1_sel:DWORD
	global_load_dwordx4 v[82:85], v[102:103], off offset:544
	global_load_dwordx4 v[86:89], v[102:103], off offset:560
	;; [unrolled: 1-line block ×5, first 2 shown]
	v_lshrrev_b16_e32 v76, 13, v76
	v_mul_lo_u16_e32 v102, 51, v76
	v_sub_u16_e32 v123, v73, v102
	v_mul_u32_u24_sdwa v75, v123, v75 dst_sel:DWORD dst_unused:UNUSED_PAD src0_sel:BYTE_0 src1_sel:DWORD
	v_lshlrev_b32_e32 v75, 4, v75
	global_load_dwordx4 v[102:105], v75, s[8:9] offset:544
	global_load_dwordx4 v[106:109], v75, s[8:9] offset:560
	;; [unrolled: 1-line block ×5, first 2 shown]
	v_mov_b32_e32 v75, 0x1320
	v_lshlrev_b32_e32 v81, 4, v81
	s_waitcnt lgkmcnt(0)
	s_barrier
	s_waitcnt vmcnt(9)
	v_mul_f64 v[118:119], v[54:55], v[84:85]
	v_mul_f64 v[84:85], v[52:53], v[84:85]
	s_waitcnt vmcnt(8)
	v_mul_f64 v[130:131], v[58:59], v[88:89]
	s_waitcnt vmcnt(7)
	v_mul_f64 v[132:133], v[62:63], v[92:93]
	v_mul_f64 v[92:93], v[60:61], v[92:93]
	s_waitcnt vmcnt(5)
	v_mul_f64 v[136:137], v[70:71], v[100:101]
	v_mul_f64 v[100:101], v[68:69], v[100:101]
	;; [unrolled: 1-line block ×4, first 2 shown]
	v_fmac_f64_e32 v[118:119], v[52:53], v[82:83]
	v_fma_f64 v[52:53], v[54:55], v[82:83], -v[84:85]
	v_fmac_f64_e32 v[130:131], v[56:57], v[86:87]
	v_fmac_f64_e32 v[132:133], v[60:61], v[90:91]
	v_fma_f64 v[56:57], v[62:63], v[90:91], -v[92:93]
	v_fma_f64 v[60:61], v[70:71], v[98:99], -v[100:101]
	v_mul_f64 v[96:97], v[64:65], v[96:97]
	v_fma_f64 v[54:55], v[58:59], v[86:87], -v[88:89]
	v_fmac_f64_e32 v[134:135], v[64:65], v[94:95]
	v_fmac_f64_e32 v[136:137], v[68:69], v[98:99]
	v_add_f64 v[86:87], v[56:57], -v[60:61]
	v_add_f64 v[88:89], v[52:53], v[56:57]
	v_add_f64 v[56:57], v[56:57], v[60:61]
	v_fma_f64 v[58:59], v[66:67], v[94:95], -v[96:97]
	v_add_f64 v[64:65], v[130:131], v[134:135]
	v_add_f64 v[68:69], v[30:31], v[54:55]
	v_add_f64 v[84:85], v[132:133], v[136:137]
	v_add_f64 v[90:91], v[132:133], -v[136:137]
	s_waitcnt vmcnt(4)
	v_mul_f64 v[92:93], v[34:35], v[104:105]
	v_mul_f64 v[94:95], v[32:33], v[104:105]
	s_waitcnt vmcnt(2)
	v_mul_f64 v[104:105], v[40:41], v[112:113]
	v_fmac_f64_e32 v[52:53], -0.5, v[56:57]
	v_add_f64 v[62:63], v[28:29], v[130:131]
	v_add_f64 v[66:67], v[54:55], -v[58:59]
	v_add_f64 v[54:55], v[54:55], v[58:59]
	v_add_f64 v[82:83], v[118:119], v[132:133]
	v_mul_f64 v[98:99], v[36:37], v[108:109]
	v_mul_f64 v[100:101], v[42:43], v[112:113]
	s_waitcnt vmcnt(1)
	v_mul_f64 v[112:113], v[44:45], v[116:117]
	v_fmac_f64_e32 v[28:29], -0.5, v[64:65]
	v_add_f64 v[58:59], v[68:69], v[58:59]
	v_fmac_f64_e32 v[118:119], -0.5, v[84:85]
	v_fma_f64 v[68:69], v[42:43], v[110:111], -v[104:105]
	v_fma_f64 v[42:43], s[2:3], v[90:91], v[52:53]
	v_fmac_f64_e32 v[52:53], s[10:11], v[90:91]
	v_add_f64 v[70:71], v[130:131], -v[134:135]
	v_mul_f64 v[96:97], v[38:39], v[108:109]
	v_mul_f64 v[108:109], v[46:47], v[116:117]
	s_waitcnt vmcnt(0)
	v_mul_f64 v[116:117], v[50:51], v[128:129]
	v_mul_f64 v[128:129], v[48:49], v[128:129]
	v_fmac_f64_e32 v[30:31], -0.5, v[54:55]
	v_add_f64 v[54:55], v[82:83], v[136:137]
	v_fma_f64 v[56:57], v[38:39], v[106:107], -v[98:99]
	v_fma_f64 v[82:83], v[46:47], v[114:115], -v[112:113]
	v_fma_f64 v[46:47], s[10:11], v[66:67], v[28:29]
	v_fmac_f64_e32 v[28:29], s[2:3], v[66:67]
	v_fma_f64 v[38:39], s[10:11], v[86:87], v[118:119]
	v_fmac_f64_e32 v[118:119], s[2:3], v[86:87]
	v_mul_f64 v[66:67], v[52:53], s[10:11]
	v_mul_f64 v[52:53], v[52:53], -0.5
	v_fmac_f64_e32 v[96:97], v[36:37], v[106:107]
	v_fma_f64 v[84:85], v[50:51], v[126:127], -v[128:129]
	v_fma_f64 v[50:51], s[2:3], v[70:71], v[30:31]
	v_fmac_f64_e32 v[30:31], s[10:11], v[70:71]
	v_fmac_f64_e32 v[52:53], s[2:3], v[118:119]
	;; [unrolled: 1-line block ×4, first 2 shown]
	v_mul_f64 v[48:49], v[42:43], s[10:11]
	v_fmac_f64_e32 v[66:67], -0.5, v[118:119]
	v_mul_f64 v[70:71], v[42:43], 0.5
	v_add_f64 v[42:43], v[30:31], v[52:53]
	v_add_f64 v[30:31], v[30:31], -v[52:53]
	v_add_f64 v[52:53], v[24:25], v[96:97]
	v_fmac_f64_e32 v[100:101], v[40:41], v[110:111]
	v_add_f64 v[40:41], v[28:29], v[66:67]
	v_add_f64 v[28:29], v[28:29], -v[66:67]
	v_add_f64 v[66:67], v[52:53], v[108:109]
	v_add_f64 v[52:53], v[96:97], v[108:109]
	v_fmac_f64_e32 v[70:71], s[2:3], v[38:39]
	v_fmac_f64_e32 v[24:25], -0.5, v[52:53]
	v_add_f64 v[52:53], v[56:57], -v[82:83]
	v_fmac_f64_e32 v[48:49], 0.5, v[38:39]
	v_add_f64 v[38:39], v[50:51], v[70:71]
	v_add_f64 v[50:51], v[50:51], -v[70:71]
	v_fma_f64 v[70:71], s[10:11], v[52:53], v[24:25]
	v_fmac_f64_e32 v[24:25], s[2:3], v[52:53]
	v_add_f64 v[52:53], v[26:27], v[56:57]
	v_add_f64 v[86:87], v[52:53], v[82:83]
	;; [unrolled: 1-line block ×3, first 2 shown]
	v_fmac_f64_e32 v[92:93], v[32:33], v[102:103]
	v_fmac_f64_e32 v[26:27], -0.5, v[52:53]
	v_add_f64 v[52:53], v[96:97], -v[108:109]
	v_fma_f64 v[82:83], s[2:3], v[52:53], v[26:27]
	v_fmac_f64_e32 v[26:27], s[10:11], v[52:53]
	v_add_f64 v[52:53], v[92:93], v[100:101]
	v_add_f64 v[60:61], v[88:89], v[60:61]
	;; [unrolled: 1-line block ×4, first 2 shown]
	v_fma_f64 v[64:65], v[34:35], v[102:103], -v[94:95]
	v_fmac_f64_e32 v[92:93], -0.5, v[52:53]
	v_add_f64 v[52:53], v[68:69], -v[84:85]
	v_add_f64 v[36:37], v[46:47], v[48:49]
	v_add_f64 v[34:35], v[58:59], v[60:61]
	v_add_f64 v[48:49], v[46:47], -v[48:49]
	v_add_f64 v[46:47], v[58:59], -v[60:61]
	v_fma_f64 v[58:59], s[10:11], v[52:53], v[92:93]
	v_fmac_f64_e32 v[92:93], s[2:3], v[52:53]
	v_add_f64 v[52:53], v[64:65], v[68:69]
	v_add_f64 v[90:91], v[52:53], v[84:85]
	;; [unrolled: 1-line block ×4, first 2 shown]
	v_fmac_f64_e32 v[64:65], -0.5, v[52:53]
	v_add_f64 v[52:53], v[100:101], -v[116:117]
	v_add_f64 v[32:33], v[62:63], v[54:55]
	v_add_f64 v[44:45], v[62:63], -v[54:55]
	v_fma_f64 v[62:63], s[2:3], v[52:53], v[64:65]
	v_fmac_f64_e32 v[64:65], s[10:11], v[52:53]
	v_mul_f64 v[94:95], v[62:63], 0.5
	v_mul_f64 v[96:97], v[64:65], -0.5
	v_fmac_f64_e32 v[94:95], s[2:3], v[58:59]
	v_fmac_f64_e32 v[96:97], s[2:3], v[92:93]
	v_cmp_lt_u32_e64 s[2:3], 50, v122
	v_mul_f64 v[68:69], v[62:63], s[10:11]
	v_mul_f64 v[84:85], v[64:65], s[10:11]
	v_cndmask_b32_e64 v75, 0, v75, s[2:3]
	v_add3_u32 v75, 0, v75, v81
	ds_write_b128 v75, v[32:35]
	ds_write_b128 v75, v[36:39] offset:816
	ds_write_b128 v75, v[40:43] offset:1632
	;; [unrolled: 1-line block ×5, first 2 shown]
	v_mul_u32_u24_e32 v28, 0x1320, v76
	v_lshlrev_b32_sdwa v29, v80, v123 dst_sel:DWORD dst_unused:UNUSED_PAD src0_sel:DWORD src1_sel:BYTE_0
	v_add_f64 v[52:53], v[66:67], v[88:89]
	v_fmac_f64_e32 v[68:69], 0.5, v[58:59]
	v_fmac_f64_e32 v[84:85], -0.5, v[92:93]
	v_add_f64 v[54:55], v[86:87], v[90:91]
	v_add3_u32 v28, 0, v28, v29
	v_add_f64 v[56:57], v[70:71], v[68:69]
	v_add_f64 v[60:61], v[24:25], v[84:85]
	;; [unrolled: 1-line block ×4, first 2 shown]
	v_add_f64 v[64:65], v[66:67], -v[88:89]
	v_add_f64 v[68:69], v[70:71], -v[68:69]
	;; [unrolled: 1-line block ×6, first 2 shown]
	ds_write_b128 v28, v[52:55]
	ds_write_b128 v28, v[56:59] offset:816
	ds_write_b128 v28, v[60:63] offset:1632
	ds_write_b128 v28, v[64:67] offset:2448
	ds_write_b128 v28, v[68:71] offset:3264
	ds_write_b128 v28, v[24:27] offset:4080
	s_and_saveexec_b64 s[2:3], vcc
	s_cbranch_execz .LBB0_19
; %bb.18:
	s_mov_b32 s10, 0xa0a1
	v_mul_u32_u24_sdwa v24, v74, s10 dst_sel:DWORD dst_unused:UNUSED_PAD src0_sel:WORD_0 src1_sel:DWORD
	v_lshrrev_b32_e32 v24, 21, v24
	v_mul_lo_u16_e32 v24, 51, v24
	v_sub_u16_e32 v44, v74, v24
	v_mul_u32_u24_e32 v24, 5, v44
	v_lshlrev_b32_e32 v45, 4, v24
	global_load_dwordx4 v[24:27], v45, s[8:9] offset:560
	global_load_dwordx4 v[28:31], v45, s[8:9] offset:592
	;; [unrolled: 1-line block ×5, first 2 shown]
	v_lshl_add_u32 v54, v44, 4, 0
	s_mov_b32 s10, 0xe8584caa
	s_mov_b32 s11, 0xbfebb67a
	;; [unrolled: 1-line block ×4, first 2 shown]
	s_waitcnt vmcnt(4)
	v_mul_f64 v[44:45], v[8:9], v[26:27]
	s_waitcnt vmcnt(3)
	v_mul_f64 v[46:47], v[0:1], v[30:31]
	v_mul_f64 v[30:31], v[2:3], v[30:31]
	s_waitcnt vmcnt(2)
	v_mul_f64 v[48:49], v[4:5], v[34:35]
	s_waitcnt vmcnt(1)
	v_mul_f64 v[50:51], v[20:21], v[38:39]
	v_mul_f64 v[34:35], v[6:7], v[34:35]
	;; [unrolled: 1-line block ×4, first 2 shown]
	s_waitcnt vmcnt(0)
	v_mul_f64 v[52:53], v[14:15], v[42:43]
	v_mul_f64 v[42:43], v[12:13], v[42:43]
	v_fma_f64 v[10:11], v[10:11], v[24:25], -v[44:45]
	v_fma_f64 v[2:3], v[2:3], v[28:29], -v[46:47]
	v_fmac_f64_e32 v[30:31], v[0:1], v[28:29]
	v_fma_f64 v[0:1], v[6:7], v[32:33], -v[48:49]
	v_fma_f64 v[6:7], v[22:23], v[36:37], -v[50:51]
	v_fmac_f64_e32 v[34:35], v[4:5], v[32:33]
	v_fmac_f64_e32 v[38:39], v[20:21], v[36:37]
	v_fmac_f64_e32 v[26:27], v[8:9], v[24:25]
	v_fmac_f64_e32 v[52:53], v[12:13], v[40:41]
	v_fma_f64 v[4:5], v[14:15], v[40:41], -v[42:43]
	v_add_f64 v[8:9], v[10:11], v[2:3]
	v_add_f64 v[20:21], v[34:35], v[38:39]
	;; [unrolled: 1-line block ×3, first 2 shown]
	v_add_f64 v[12:13], v[26:27], -v[30:31]
	v_add_f64 v[14:15], v[0:1], -v[6:7]
	;; [unrolled: 1-line block ×3, first 2 shown]
	v_add_f64 v[28:29], v[18:19], v[10:11]
	v_add_f64 v[0:1], v[4:5], v[0:1]
	;; [unrolled: 1-line block ×5, first 2 shown]
	v_fma_f64 v[8:9], -0.5, v[8:9], v[18:19]
	v_fma_f64 v[18:19], -0.5, v[20:21], v[52:53]
	;; [unrolled: 1-line block ×3, first 2 shown]
	v_add_f64 v[4:5], v[28:29], v[2:3]
	v_add_f64 v[6:7], v[0:1], v[6:7]
	v_fma_f64 v[16:17], -0.5, v[32:33], v[16:17]
	v_add_f64 v[22:23], v[26:27], v[30:31]
	v_add_f64 v[26:27], v[34:35], v[38:39]
	v_fma_f64 v[32:33], s[10:11], v[24:25], v[20:21]
	v_fmac_f64_e32 v[20:21], s[12:13], v[24:25]
	v_add_f64 v[10:11], v[10:11], -v[2:3]
	v_fma_f64 v[30:31], s[12:13], v[14:15], v[18:19]
	v_fmac_f64_e32 v[18:19], s[10:11], v[14:15]
	v_add_f64 v[2:3], v[4:5], -v[6:7]
	v_add_f64 v[0:1], v[22:23], -v[26:27]
	v_add_f64 v[6:7], v[4:5], v[6:7]
	v_add_f64 v[4:5], v[22:23], v[26:27]
	v_mul_f64 v[14:15], v[20:21], 0.5
	v_mul_f64 v[22:23], v[32:33], s[10:11]
	v_mul_f64 v[20:21], v[20:21], s[10:11]
	v_fma_f64 v[28:29], s[10:11], v[12:13], v[8:9]
	v_fmac_f64_e32 v[8:9], s[12:13], v[12:13]
	v_fma_f64 v[12:13], s[12:13], v[10:11], v[16:17]
	v_fmac_f64_e32 v[16:17], s[10:11], v[10:11]
	v_mul_f64 v[10:11], v[32:33], -0.5
	v_fmac_f64_e32 v[14:15], s[12:13], v[18:19]
	v_fmac_f64_e32 v[22:23], -0.5, v[30:31]
	v_fmac_f64_e32 v[20:21], 0.5, v[18:19]
	ds_write_b128 v54, v[4:7] offset:19584
	ds_write_b128 v54, v[0:3] offset:22032
	v_fmac_f64_e32 v[10:11], s[12:13], v[30:31]
	v_add_f64 v[6:7], v[8:9], -v[14:15]
	v_add_f64 v[0:1], v[12:13], -v[22:23]
	v_add_f64 v[14:15], v[8:9], v[14:15]
	v_add_f64 v[8:9], v[12:13], v[22:23]
	;; [unrolled: 1-line block ×3, first 2 shown]
	v_add_f64 v[2:3], v[28:29], -v[10:11]
	v_add_f64 v[4:5], v[16:17], -v[20:21]
	v_add_f64 v[10:11], v[28:29], v[10:11]
	ds_write_b128 v54, v[12:15] offset:20400
	ds_write_b128 v54, v[8:11] offset:21216
	;; [unrolled: 1-line block ×4, first 2 shown]
.LBB0_19:
	s_or_b64 exec, exec, s[2:3]
	v_lshlrev_b32_e32 v76, 2, v122
	v_lshl_add_u64 v[0:1], v[76:77], 4, s[8:9]
	s_movk_i32 s12, 0x1000
	s_mov_b64 s[10:11], 0x1210
	v_add_co_u32_e64 v2, s[2:3], s12, v0
	v_lshlrev_b32_e32 v76, 2, v73
	s_nop 0
	v_addc_co_u32_e64 v3, s[2:3], 0, v1, s[2:3]
	v_lshl_add_u64 v[0:1], v[0:1], 0, s[10:11]
	s_waitcnt lgkmcnt(0)
	s_barrier
	global_load_dwordx4 v[12:15], v[2:3], off offset:528
	global_load_dwordx4 v[16:19], v[0:1], off offset:16
	;; [unrolled: 1-line block ×4, first 2 shown]
	v_lshl_add_u64 v[0:1], v[76:77], 4, s[8:9]
	v_add_co_u32_e64 v2, s[2:3], s12, v0
	v_lshlrev_b32_e32 v76, 2, v74
	s_nop 0
	v_addc_co_u32_e64 v3, s[2:3], 0, v1, s[2:3]
	v_lshl_add_u64 v[0:1], v[0:1], 0, s[10:11]
	global_load_dwordx4 v[28:31], v[2:3], off offset:528
	global_load_dwordx4 v[32:35], v[0:1], off offset:16
	;; [unrolled: 1-line block ×4, first 2 shown]
	v_lshl_add_u64 v[0:1], v[76:77], 4, s[8:9]
	v_add_co_u32_e64 v2, s[2:3], s12, v0
	s_mov_b32 s15, 0x3fee6f0e
	s_nop 0
	v_addc_co_u32_e64 v3, s[2:3], 0, v1, s[2:3]
	global_load_dwordx4 v[44:47], v[2:3], off offset:528
	v_lshl_add_u64 v[0:1], v[0:1], 0, s[10:11]
	global_load_dwordx4 v[48:51], v[0:1], off offset:16
	global_load_dwordx4 v[52:55], v[0:1], off offset:32
	;; [unrolled: 1-line block ×3, first 2 shown]
	ds_read_b128 v[60:63], v78
	ds_read_b128 v[8:11], v250
	ds_read_b128 v[4:7], v250 offset:1632
	ds_read_b128 v[64:67], v250 offset:9792
	;; [unrolled: 1-line block ×11, first 2 shown]
	ds_read_b128 v[0:3], v79
	ds_read_b128 v[112:115], v250 offset:22848
	s_mov_b32 s10, 0x134454ff
	s_mov_b32 s11, 0xbfee6f0e
	;; [unrolled: 1-line block ×9, first 2 shown]
	s_waitcnt lgkmcnt(0)
	s_barrier
	s_add_u32 s8, s8, 0x5e90
	s_addc_u32 s9, s9, 0
	s_waitcnt vmcnt(10)
	v_mul_f64 v[116:117], v[66:67], v[18:19]
	v_mul_f64 v[76:77], v[62:63], v[14:15]
	;; [unrolled: 1-line block ×3, first 2 shown]
	s_waitcnt vmcnt(8)
	v_mul_f64 v[126:127], v[82:83], v[26:27]
	v_mul_f64 v[26:27], v[80:81], v[26:27]
	v_fmac_f64_e32 v[76:77], v[60:61], v[12:13]
	v_fma_f64 v[60:61], v[62:63], v[12:13], -v[14:15]
	v_fmac_f64_e32 v[126:127], v[80:81], v[24:25]
	v_mul_f64 v[18:19], v[64:65], v[18:19]
	v_fma_f64 v[62:63], v[66:67], v[16:17], -v[18:19]
	s_waitcnt vmcnt(7)
	v_mul_f64 v[80:81], v[90:91], v[30:31]
	v_mul_f64 v[12:13], v[88:89], v[30:31]
	v_fmac_f64_e32 v[80:81], v[88:89], v[28:29]
	v_fma_f64 v[88:89], v[90:91], v[28:29], -v[12:13]
	v_fma_f64 v[66:67], v[82:83], v[24:25], -v[26:27]
	s_waitcnt vmcnt(6)
	v_mul_f64 v[82:83], v[70:71], v[34:35]
	v_mul_f64 v[14:15], v[68:69], v[34:35]
	v_fmac_f64_e32 v[82:83], v[68:69], v[32:33]
	s_waitcnt vmcnt(3)
	v_mul_f64 v[12:13], v[92:93], v[46:47]
	v_fma_f64 v[28:29], v[94:95], v[44:45], -v[12:13]
	s_waitcnt vmcnt(2)
	v_mul_f64 v[12:13], v[100:101], v[50:51]
	v_fma_f64 v[30:31], v[102:103], v[48:49], -v[12:13]
	;; [unrolled: 3-line block ×3, first 2 shown]
	v_fma_f64 v[32:33], v[110:111], v[52:53], -v[12:13]
	s_waitcnt vmcnt(0)
	v_mul_f64 v[12:13], v[112:113], v[58:59]
	v_mul_f64 v[118:119], v[98:99], v[22:23]
	v_fmac_f64_e32 v[116:117], v[64:65], v[16:17]
	v_fma_f64 v[34:35], v[114:115], v[56:57], -v[12:13]
	v_add_f64 v[12:13], v[8:9], v[76:77]
	v_fmac_f64_e32 v[118:119], v[96:97], v[20:21]
	v_add_f64 v[12:13], v[12:13], v[116:117]
	v_mul_f64 v[16:17], v[104:105], v[38:39]
	v_add_f64 v[12:13], v[12:13], v[118:119]
	v_mul_f64 v[22:23], v[96:97], v[22:23]
	v_fma_f64 v[70:71], v[106:107], v[36:37], -v[16:17]
	v_add_f64 v[16:17], v[12:13], v[126:127]
	v_add_f64 v[12:13], v[116:117], v[118:119]
	v_fma_f64 v[64:65], v[98:99], v[20:21], -v[22:23]
	v_mul_f64 v[98:99], v[86:87], v[42:43]
	v_mul_f64 v[18:19], v[84:85], v[42:43]
	v_fma_f64 v[12:13], -0.5, v[12:13], v[8:9]
	v_add_f64 v[14:15], v[60:61], -v[66:67]
	v_fmac_f64_e32 v[98:99], v[84:85], v[40:41]
	v_fma_f64 v[84:85], v[86:87], v[40:41], -v[18:19]
	v_fma_f64 v[20:21], s[10:11], v[14:15], v[12:13]
	v_add_f64 v[18:19], v[62:63], -v[64:65]
	v_add_f64 v[22:23], v[76:77], -v[116:117]
	;; [unrolled: 1-line block ×3, first 2 shown]
	v_fmac_f64_e32 v[12:13], s[14:15], v[14:15]
	v_fmac_f64_e32 v[20:21], s[2:3], v[18:19]
	v_add_f64 v[22:23], v[22:23], v[24:25]
	v_fmac_f64_e32 v[12:13], s[16:17], v[18:19]
	v_fmac_f64_e32 v[20:21], s[12:13], v[22:23]
	;; [unrolled: 1-line block ×3, first 2 shown]
	v_add_f64 v[22:23], v[76:77], v[126:127]
	v_fmac_f64_e32 v[8:9], -0.5, v[22:23]
	v_fma_f64 v[24:25], s[14:15], v[18:19], v[8:9]
	v_fmac_f64_e32 v[8:9], s[10:11], v[18:19]
	v_fmac_f64_e32 v[24:25], s[2:3], v[14:15]
	;; [unrolled: 1-line block ×3, first 2 shown]
	v_add_f64 v[14:15], v[10:11], v[60:61]
	v_add_f64 v[14:15], v[14:15], v[62:63]
	v_mul_f64 v[96:97], v[106:107], v[38:39]
	v_add_f64 v[14:15], v[14:15], v[64:65]
	v_fmac_f64_e32 v[96:97], v[104:105], v[36:37]
	v_mul_f64 v[36:37], v[94:95], v[46:47]
	v_add_f64 v[22:23], v[116:117], -v[76:77]
	v_add_f64 v[26:27], v[118:119], -v[126:127]
	v_add_f64 v[18:19], v[14:15], v[66:67]
	v_add_f64 v[14:15], v[62:63], v[64:65]
	v_fmac_f64_e32 v[36:37], v[92:93], v[44:45]
	v_mul_f64 v[38:39], v[102:103], v[50:51]
	v_add_f64 v[22:23], v[22:23], v[26:27]
	v_fma_f64 v[14:15], -0.5, v[14:15], v[10:11]
	v_add_f64 v[44:45], v[76:77], -v[126:127]
	v_fmac_f64_e32 v[38:39], v[100:101], v[48:49]
	v_fmac_f64_e32 v[24:25], s[12:13], v[22:23]
	;; [unrolled: 1-line block ×3, first 2 shown]
	v_fma_f64 v[22:23], s[14:15], v[44:45], v[14:15]
	v_add_f64 v[46:47], v[116:117], -v[118:119]
	v_add_f64 v[26:27], v[60:61], -v[62:63]
	;; [unrolled: 1-line block ×3, first 2 shown]
	v_fmac_f64_e32 v[14:15], s[10:11], v[44:45]
	v_fmac_f64_e32 v[22:23], s[16:17], v[46:47]
	v_add_f64 v[26:27], v[26:27], v[48:49]
	v_fmac_f64_e32 v[14:15], s[2:3], v[46:47]
	v_fmac_f64_e32 v[22:23], s[12:13], v[26:27]
	;; [unrolled: 1-line block ×3, first 2 shown]
	v_add_f64 v[26:27], v[60:61], v[66:67]
	v_fmac_f64_e32 v[10:11], -0.5, v[26:27]
	v_fma_f64 v[26:27], s[10:11], v[46:47], v[10:11]
	v_add_f64 v[48:49], v[62:63], -v[60:61]
	v_add_f64 v[50:51], v[64:65], -v[66:67]
	v_fmac_f64_e32 v[10:11], s[14:15], v[46:47]
	v_fmac_f64_e32 v[26:27], s[16:17], v[44:45]
	v_add_f64 v[48:49], v[48:49], v[50:51]
	v_fmac_f64_e32 v[10:11], s[2:3], v[44:45]
	v_add_f64 v[46:47], v[82:83], v[96:97]
	v_mul_f64 v[40:41], v[110:111], v[54:55]
	v_mul_f64 v[42:43], v[114:115], v[58:59]
	v_fmac_f64_e32 v[26:27], s[12:13], v[48:49]
	v_fmac_f64_e32 v[10:11], s[12:13], v[48:49]
	v_fma_f64 v[48:49], -0.5, v[46:47], v[4:5]
	v_add_f64 v[46:47], v[88:89], -v[84:85]
	v_fmac_f64_e32 v[40:41], v[108:109], v[52:53]
	v_fmac_f64_e32 v[42:43], v[112:113], v[56:57]
	v_fma_f64 v[52:53], s[10:11], v[46:47], v[48:49]
	v_add_f64 v[50:51], v[68:69], -v[70:71]
	v_add_f64 v[54:55], v[80:81], -v[82:83]
	;; [unrolled: 1-line block ×3, first 2 shown]
	v_fmac_f64_e32 v[48:49], s[14:15], v[46:47]
	v_fmac_f64_e32 v[52:53], s[2:3], v[50:51]
	v_add_f64 v[54:55], v[54:55], v[56:57]
	v_fmac_f64_e32 v[48:49], s[16:17], v[50:51]
	v_fmac_f64_e32 v[52:53], s[12:13], v[54:55]
	;; [unrolled: 1-line block ×3, first 2 shown]
	v_add_f64 v[54:55], v[80:81], v[98:99]
	v_add_f64 v[44:45], v[4:5], v[80:81]
	v_fmac_f64_e32 v[4:5], -0.5, v[54:55]
	v_fma_f64 v[56:57], s[14:15], v[50:51], v[4:5]
	v_add_f64 v[54:55], v[82:83], -v[80:81]
	v_add_f64 v[58:59], v[96:97], -v[98:99]
	v_fmac_f64_e32 v[4:5], s[10:11], v[50:51]
	v_add_f64 v[50:51], v[68:69], v[70:71]
	v_fmac_f64_e32 v[56:57], s[2:3], v[46:47]
	v_add_f64 v[54:55], v[54:55], v[58:59]
	v_fmac_f64_e32 v[4:5], s[16:17], v[46:47]
	v_fma_f64 v[50:51], -0.5, v[50:51], v[6:7]
	v_add_f64 v[60:61], v[80:81], -v[98:99]
	v_fmac_f64_e32 v[56:57], s[12:13], v[54:55]
	v_fmac_f64_e32 v[4:5], s[12:13], v[54:55]
	v_fma_f64 v[54:55], s[14:15], v[60:61], v[50:51]
	v_add_f64 v[62:63], v[82:83], -v[96:97]
	v_add_f64 v[58:59], v[88:89], -v[68:69]
	;; [unrolled: 1-line block ×3, first 2 shown]
	v_fmac_f64_e32 v[50:51], s[10:11], v[60:61]
	v_fmac_f64_e32 v[54:55], s[16:17], v[62:63]
	v_add_f64 v[58:59], v[58:59], v[64:65]
	v_fmac_f64_e32 v[50:51], s[2:3], v[62:63]
	v_fmac_f64_e32 v[54:55], s[12:13], v[58:59]
	;; [unrolled: 1-line block ×3, first 2 shown]
	v_add_f64 v[58:59], v[88:89], v[84:85]
	v_add_f64 v[46:47], v[6:7], v[88:89]
	v_fmac_f64_e32 v[6:7], -0.5, v[58:59]
	v_fma_f64 v[58:59], s[10:11], v[62:63], v[6:7]
	v_add_f64 v[64:65], v[68:69], -v[88:89]
	v_add_f64 v[66:67], v[70:71], -v[84:85]
	v_fmac_f64_e32 v[6:7], s[14:15], v[62:63]
	v_fmac_f64_e32 v[58:59], s[16:17], v[60:61]
	v_add_f64 v[64:65], v[64:65], v[66:67]
	v_fmac_f64_e32 v[6:7], s[2:3], v[60:61]
	v_add_f64 v[62:63], v[38:39], v[40:41]
	v_add_f64 v[46:47], v[46:47], v[68:69]
	v_fmac_f64_e32 v[58:59], s[12:13], v[64:65]
	v_fmac_f64_e32 v[6:7], s[12:13], v[64:65]
	v_fma_f64 v[64:65], -0.5, v[62:63], v[0:1]
	v_add_f64 v[62:63], v[28:29], -v[34:35]
	v_add_f64 v[46:47], v[46:47], v[70:71]
	v_fma_f64 v[68:69], s[10:11], v[62:63], v[64:65]
	v_add_f64 v[66:67], v[30:31], -v[32:33]
	v_add_f64 v[70:71], v[36:37], -v[38:39]
	;; [unrolled: 1-line block ×3, first 2 shown]
	v_fmac_f64_e32 v[64:65], s[14:15], v[62:63]
	v_fmac_f64_e32 v[68:69], s[2:3], v[66:67]
	v_add_f64 v[70:71], v[70:71], v[76:77]
	v_fmac_f64_e32 v[64:65], s[16:17], v[66:67]
	v_fmac_f64_e32 v[68:69], s[12:13], v[70:71]
	v_fmac_f64_e32 v[64:65], s[12:13], v[70:71]
	v_add_f64 v[70:71], v[36:37], v[42:43]
	v_add_f64 v[60:61], v[0:1], v[36:37]
	v_fmac_f64_e32 v[0:1], -0.5, v[70:71]
	v_add_f64 v[60:61], v[60:61], v[38:39]
	v_fma_f64 v[80:81], s[14:15], v[66:67], v[0:1]
	v_add_f64 v[70:71], v[38:39], -v[36:37]
	v_add_f64 v[76:77], v[40:41], -v[42:43]
	v_fmac_f64_e32 v[0:1], s[10:11], v[66:67]
	v_add_f64 v[66:67], v[30:31], v[32:33]
	v_add_f64 v[60:61], v[60:61], v[40:41]
	v_fmac_f64_e32 v[80:81], s[2:3], v[62:63]
	v_add_f64 v[70:71], v[70:71], v[76:77]
	v_fmac_f64_e32 v[0:1], s[16:17], v[62:63]
	v_fma_f64 v[66:67], -0.5, v[66:67], v[2:3]
	v_add_f64 v[36:37], v[36:37], -v[42:43]
	v_add_f64 v[60:61], v[60:61], v[42:43]
	v_fmac_f64_e32 v[80:81], s[12:13], v[70:71]
	v_fmac_f64_e32 v[0:1], s[12:13], v[70:71]
	v_fma_f64 v[70:71], s[14:15], v[36:37], v[66:67]
	v_add_f64 v[38:39], v[38:39], -v[40:41]
	v_add_f64 v[40:41], v[28:29], -v[30:31]
	;; [unrolled: 1-line block ×3, first 2 shown]
	v_fmac_f64_e32 v[66:67], s[10:11], v[36:37]
	v_fmac_f64_e32 v[70:71], s[16:17], v[38:39]
	v_add_f64 v[40:41], v[40:41], v[42:43]
	v_fmac_f64_e32 v[66:67], s[2:3], v[38:39]
	v_fmac_f64_e32 v[70:71], s[12:13], v[40:41]
	;; [unrolled: 1-line block ×3, first 2 shown]
	v_add_f64 v[40:41], v[28:29], v[34:35]
	v_add_f64 v[62:63], v[2:3], v[28:29]
	v_fmac_f64_e32 v[2:3], -0.5, v[40:41]
	v_add_f64 v[44:45], v[44:45], v[82:83]
	v_add_f64 v[62:63], v[62:63], v[30:31]
	v_fma_f64 v[82:83], s[10:11], v[38:39], v[2:3]
	v_add_f64 v[28:29], v[30:31], -v[28:29]
	v_add_f64 v[30:31], v[32:33], -v[34:35]
	v_fmac_f64_e32 v[2:3], s[14:15], v[38:39]
	v_add_f64 v[28:29], v[28:29], v[30:31]
	v_fmac_f64_e32 v[2:3], s[2:3], v[36:37]
	v_add_f64 v[44:45], v[44:45], v[96:97]
	v_add_f64 v[62:63], v[62:63], v[32:33]
	v_fmac_f64_e32 v[82:83], s[16:17], v[36:37]
	v_fmac_f64_e32 v[2:3], s[12:13], v[28:29]
	v_add_f64 v[44:45], v[44:45], v[98:99]
	v_add_f64 v[46:47], v[46:47], v[84:85]
	;; [unrolled: 1-line block ×3, first 2 shown]
	v_fmac_f64_e32 v[82:83], s[12:13], v[28:29]
	ds_write_b128 v250, v[16:19]
	ds_write_b128 v250, v[20:23] offset:4896
	ds_write_b128 v250, v[24:27] offset:9792
	;; [unrolled: 1-line block ×9, first 2 shown]
	ds_write_b128 v79, v[60:63]
	ds_write_b128 v79, v[68:71] offset:4896
	ds_write_b128 v79, v[80:83] offset:9792
	;; [unrolled: 1-line block ×4, first 2 shown]
	s_waitcnt lgkmcnt(0)
	s_barrier
	ds_read_b128 v[0:3], v250
	v_lshlrev_b32_e32 v4, 4, v122
	v_sub_u32_e32 v16, 0, v4
	v_cmp_ne_u32_e64 s[2:3], 0, v122
                                        ; implicit-def: $vgpr10_vgpr11
                                        ; implicit-def: $vgpr14_vgpr15
                                        ; implicit-def: $vgpr4_vgpr5
	s_and_saveexec_b64 s[10:11], s[2:3]
	s_xor_b64 s[2:3], exec, s[10:11]
	s_cbranch_execz .LBB0_21
; %bb.20:
	v_mov_b32_e32 v123, 0
	v_lshl_add_u64 v[4:5], v[122:123], 4, s[8:9]
	global_load_dwordx4 v[4:7], v[4:5], off
	ds_read_b128 v[8:11], v16 offset:24480
	s_waitcnt lgkmcnt(0)
	v_add_f64 v[12:13], v[0:1], v[8:9]
	v_add_f64 v[0:1], v[0:1], -v[8:9]
	v_add_f64 v[14:15], v[2:3], v[10:11]
	v_add_f64 v[2:3], v[2:3], -v[10:11]
	v_mul_f64 v[0:1], v[0:1], 0.5
	v_mul_f64 v[8:9], v[14:15], 0.5
	;; [unrolled: 1-line block ×3, first 2 shown]
	s_waitcnt vmcnt(0)
	v_mul_f64 v[10:11], v[0:1], v[6:7]
	v_fma_f64 v[14:15], v[8:9], v[6:7], v[2:3]
	v_fma_f64 v[2:3], v[8:9], v[6:7], -v[2:3]
	v_fma_f64 v[6:7], 0.5, v[12:13], v[10:11]
	v_fma_f64 v[12:13], v[12:13], 0.5, -v[10:11]
	v_fmac_f64_e32 v[6:7], v[8:9], v[4:5]
	v_fma_f64 v[14:15], -v[4:5], v[0:1], v[14:15]
	v_fma_f64 v[10:11], -v[4:5], v[0:1], v[2:3]
	;; [unrolled: 1-line block ×3, first 2 shown]
	ds_write_b64 v250, v[6:7]
	v_mov_b64_e32 v[4:5], v[122:123]
                                        ; implicit-def: $vgpr0_vgpr1
.LBB0_21:
	s_andn2_saveexec_b64 s[2:3], s[2:3]
	s_cbranch_execz .LBB0_23
; %bb.22:
	v_mov_b32_e32 v12, 0
	ds_read_b64 v[6:7], v12 offset:12248
	s_waitcnt lgkmcnt(1)
	v_add_f64 v[10:11], v[0:1], v[2:3]
	v_mov_b64_e32 v[14:15], 0
	v_add_f64 v[8:9], v[0:1], -v[2:3]
	v_mov_b64_e32 v[4:5], 0
	ds_write_b64 v250, v[10:11]
	s_waitcnt lgkmcnt(1)
	v_xor_b32_e32 v7, 0x80000000, v7
	v_mov_b64_e32 v[10:11], v[14:15]
	ds_write_b64 v12, v[6:7] offset:12248
.LBB0_23:
	s_or_b64 exec, exec, s[2:3]
	v_lshl_add_u64 v[12:13], v[4:5], 4, s[8:9]
	global_load_dwordx4 v[18:21], v[12:13], off offset:1632
	v_mov_b32_e32 v75, 0
	s_waitcnt lgkmcnt(0)
	v_lshl_add_u64 v[0:1], v[74:75], 4, s[8:9]
	global_load_dwordx4 v[0:3], v[0:1], off
	v_mov_b32_e32 v73, v75
	v_lshl_add_u64 v[4:5], v[72:73], 4, s[8:9]
	global_load_dwordx4 v[4:7], v[4:5], off
	s_movk_i32 s2, 0x1000
	ds_write_b64 v250, v[14:15] offset:8
	ds_write_b128 v16, v[8:11] offset:24480
	v_add_co_u32_e64 v14, s[2:3], s2, v12
	ds_read_b128 v[8:11], v250 offset:1632
	ds_read_b128 v[22:25], v16 offset:22848
	v_addc_co_u32_e64 v15, s[2:3], 0, v13, s[2:3]
	global_load_dwordx4 v[26:29], v[14:15], off offset:2432
	s_movk_i32 s2, 0x2000
	s_waitcnt lgkmcnt(0)
	v_add_f64 v[30:31], v[8:9], v[22:23]
	v_add_f64 v[8:9], v[8:9], -v[22:23]
	v_add_f64 v[32:33], v[10:11], v[24:25]
	v_add_f64 v[10:11], v[10:11], -v[24:25]
	v_mul_f64 v[24:25], v[8:9], 0.5
	v_mul_f64 v[22:23], v[32:33], 0.5
	;; [unrolled: 1-line block ×3, first 2 shown]
	s_waitcnt vmcnt(3)
	v_mul_f64 v[32:33], v[24:25], v[20:21]
	v_fma_f64 v[10:11], v[22:23], v[20:21], v[8:9]
	v_fma_f64 v[20:21], v[22:23], v[20:21], -v[8:9]
	v_fma_f64 v[8:9], 0.5, v[30:31], v[32:33]
	v_fma_f64 v[10:11], -v[18:19], v[24:25], v[10:11]
	v_fma_f64 v[30:31], v[30:31], 0.5, -v[32:33]
	v_fmac_f64_e32 v[8:9], v[22:23], v[18:19]
	v_fma_f64 v[20:21], -v[18:19], v[24:25], v[20:21]
	v_fma_f64 v[18:19], -v[22:23], v[18:19], v[30:31]
	ds_write_b128 v250, v[8:11] offset:1632
	ds_write_b128 v16, v[18:21] offset:22848
	ds_read_b128 v[8:11], v79
	ds_read_b128 v[18:21], v16 offset:21216
	global_load_dwordx4 v[22:25], v[14:15], off offset:4064
	s_waitcnt lgkmcnt(0)
	v_add_f64 v[14:15], v[8:9], v[18:19]
	v_add_f64 v[8:9], v[8:9], -v[18:19]
	v_add_f64 v[30:31], v[10:11], v[20:21]
	v_add_f64 v[10:11], v[10:11], -v[20:21]
	v_mul_f64 v[20:21], v[8:9], 0.5
	v_mul_f64 v[18:19], v[30:31], 0.5
	;; [unrolled: 1-line block ×3, first 2 shown]
	s_waitcnt vmcnt(3)
	v_mul_f64 v[30:31], v[20:21], v[2:3]
	v_fma_f64 v[10:11], v[18:19], v[2:3], v[8:9]
	v_fma_f64 v[2:3], v[18:19], v[2:3], -v[8:9]
	v_fma_f64 v[8:9], 0.5, v[14:15], v[30:31]
	v_fma_f64 v[14:15], v[14:15], 0.5, -v[30:31]
	v_fma_f64 v[10:11], -v[0:1], v[20:21], v[10:11]
	v_fma_f64 v[2:3], -v[0:1], v[20:21], v[2:3]
	v_fmac_f64_e32 v[8:9], v[18:19], v[0:1]
	v_fma_f64 v[0:1], -v[18:19], v[0:1], v[14:15]
	ds_write_b128 v79, v[8:11]
	ds_write_b128 v16, v[0:3] offset:21216
	v_add_co_u32_e64 v0, s[2:3], s2, v12
	ds_read_b128 v[8:11], v78
	ds_read_b128 v[18:21], v16 offset:19584
	v_addc_co_u32_e64 v1, s[2:3], 0, v13, s[2:3]
	global_load_dwordx4 v[12:15], v[0:1], off offset:1600
	s_waitcnt lgkmcnt(0)
	v_add_f64 v[2:3], v[8:9], v[18:19]
	v_add_f64 v[8:9], v[8:9], -v[18:19]
	v_add_f64 v[30:31], v[10:11], v[20:21]
	v_add_f64 v[10:11], v[10:11], -v[20:21]
	v_mul_f64 v[20:21], v[8:9], 0.5
	v_mul_f64 v[18:19], v[30:31], 0.5
	;; [unrolled: 1-line block ×3, first 2 shown]
	s_waitcnt vmcnt(3)
	v_mul_f64 v[10:11], v[20:21], v[6:7]
	v_fma_f64 v[30:31], v[18:19], v[6:7], v[8:9]
	v_fma_f64 v[32:33], v[18:19], v[6:7], -v[8:9]
	v_fma_f64 v[6:7], 0.5, v[2:3], v[10:11]
	v_fma_f64 v[8:9], -v[4:5], v[20:21], v[30:31]
	v_fma_f64 v[2:3], v[2:3], 0.5, -v[10:11]
	v_fmac_f64_e32 v[6:7], v[18:19], v[4:5]
	v_fma_f64 v[20:21], -v[4:5], v[20:21], v[32:33]
	v_fma_f64 v[18:19], -v[18:19], v[4:5], v[2:3]
	ds_write_b128 v78, v[6:9]
	ds_write_b128 v16, v[18:21] offset:19584
	ds_read_b128 v[2:5], v250 offset:6528
	ds_read_b128 v[6:9], v16 offset:17952
	s_waitcnt lgkmcnt(0)
	v_add_f64 v[10:11], v[2:3], v[6:7]
	v_add_f64 v[2:3], v[2:3], -v[6:7]
	v_add_f64 v[18:19], v[4:5], v[8:9]
	v_add_f64 v[4:5], v[4:5], -v[8:9]
	v_mul_f64 v[8:9], v[2:3], 0.5
	v_mul_f64 v[6:7], v[18:19], 0.5
	;; [unrolled: 1-line block ×3, first 2 shown]
	s_waitcnt vmcnt(2)
	v_mul_f64 v[18:19], v[8:9], v[28:29]
	v_fma_f64 v[4:5], v[6:7], v[28:29], v[2:3]
	v_fma_f64 v[20:21], v[6:7], v[28:29], -v[2:3]
	v_fma_f64 v[2:3], 0.5, v[10:11], v[18:19]
	v_fma_f64 v[4:5], -v[26:27], v[8:9], v[4:5]
	v_fma_f64 v[10:11], v[10:11], 0.5, -v[18:19]
	v_fmac_f64_e32 v[2:3], v[6:7], v[26:27]
	v_fma_f64 v[8:9], -v[26:27], v[8:9], v[20:21]
	v_fma_f64 v[6:7], -v[6:7], v[26:27], v[10:11]
	ds_write_b128 v250, v[2:5] offset:6528
	ds_write_b128 v16, v[6:9] offset:17952
	ds_read_b128 v[2:5], v250 offset:8160
	ds_read_b128 v[6:9], v16 offset:16320
	s_waitcnt lgkmcnt(0)
	v_add_f64 v[10:11], v[2:3], v[6:7]
	v_add_f64 v[2:3], v[2:3], -v[6:7]
	v_add_f64 v[18:19], v[4:5], v[8:9]
	v_add_f64 v[4:5], v[4:5], -v[8:9]
	v_mul_f64 v[8:9], v[2:3], 0.5
	v_mul_f64 v[6:7], v[18:19], 0.5
	;; [unrolled: 1-line block ×3, first 2 shown]
	s_waitcnt vmcnt(1)
	v_mul_f64 v[18:19], v[8:9], v[24:25]
	v_fma_f64 v[4:5], v[6:7], v[24:25], v[2:3]
	v_fma_f64 v[20:21], v[6:7], v[24:25], -v[2:3]
	v_fma_f64 v[2:3], 0.5, v[10:11], v[18:19]
	v_fma_f64 v[4:5], -v[22:23], v[8:9], v[4:5]
	v_fma_f64 v[10:11], v[10:11], 0.5, -v[18:19]
	v_fmac_f64_e32 v[2:3], v[6:7], v[22:23]
	v_fma_f64 v[8:9], -v[22:23], v[8:9], v[20:21]
	v_fma_f64 v[6:7], -v[6:7], v[22:23], v[10:11]
	ds_write_b128 v250, v[2:5] offset:8160
	ds_write_b128 v16, v[6:9] offset:16320
	ds_read_b128 v[2:5], v250 offset:9792
	ds_read_b128 v[6:9], v16 offset:14688
	s_waitcnt lgkmcnt(0)
	v_add_f64 v[10:11], v[2:3], v[6:7]
	v_add_f64 v[18:19], v[4:5], v[8:9]
	v_add_f64 v[2:3], v[2:3], -v[6:7]
	v_add_f64 v[4:5], v[4:5], -v[8:9]
	v_mul_f64 v[8:9], v[18:19], 0.5
	v_mul_f64 v[18:19], v[2:3], 0.5
	;; [unrolled: 1-line block ×3, first 2 shown]
	s_waitcnt vmcnt(0)
	v_mul_f64 v[6:7], v[18:19], v[14:15]
	v_fma_f64 v[4:5], v[8:9], v[14:15], v[20:21]
	v_fma_f64 v[2:3], 0.5, v[10:11], v[6:7]
	v_fma_f64 v[4:5], -v[12:13], v[18:19], v[4:5]
	v_fmac_f64_e32 v[2:3], v[8:9], v[12:13]
	v_fma_f64 v[6:7], v[10:11], 0.5, -v[6:7]
	ds_write_b128 v250, v[2:5] offset:9792
	v_fma_f64 v[2:3], v[8:9], v[14:15], -v[20:21]
	v_fma_f64 v[6:7], -v[8:9], v[12:13], v[6:7]
	v_fma_f64 v[8:9], -v[12:13], v[18:19], v[2:3]
	ds_write_b128 v16, v[6:9] offset:14688
	s_and_saveexec_b64 s[2:3], vcc
	s_cbranch_execz .LBB0_25
; %bb.24:
	global_load_dwordx4 v[0:3], v[0:1], off offset:3232
	ds_read_b128 v[4:7], v250 offset:11424
	ds_read_b128 v[8:11], v16 offset:13056
	s_waitcnt lgkmcnt(0)
	v_add_f64 v[12:13], v[4:5], v[8:9]
	v_add_f64 v[4:5], v[4:5], -v[8:9]
	v_add_f64 v[14:15], v[6:7], v[10:11]
	v_add_f64 v[6:7], v[6:7], -v[10:11]
	v_mul_f64 v[8:9], v[4:5], 0.5
	v_mul_f64 v[10:11], v[14:15], 0.5
	;; [unrolled: 1-line block ×3, first 2 shown]
	s_waitcnt vmcnt(0)
	v_mul_f64 v[6:7], v[8:9], v[2:3]
	v_fma_f64 v[14:15], v[10:11], v[2:3], v[4:5]
	v_fma_f64 v[18:19], v[10:11], v[2:3], -v[4:5]
	v_fma_f64 v[2:3], 0.5, v[12:13], v[6:7]
	v_fma_f64 v[4:5], -v[0:1], v[8:9], v[14:15]
	v_fma_f64 v[6:7], v[12:13], 0.5, -v[6:7]
	v_fmac_f64_e32 v[2:3], v[10:11], v[0:1]
	v_fma_f64 v[8:9], -v[0:1], v[8:9], v[18:19]
	v_fma_f64 v[6:7], -v[10:11], v[0:1], v[6:7]
	ds_write_b128 v250, v[2:5] offset:11424
	ds_write_b128 v16, v[6:9] offset:13056
.LBB0_25:
	s_or_b64 exec, exec, s[2:3]
	s_waitcnt lgkmcnt(0)
	s_barrier
	s_and_saveexec_b64 s[2:3], s[0:1]
	s_cbranch_execz .LBB0_28
; %bb.26:
	v_mul_lo_u32 v2, s5, v124
	v_mul_lo_u32 v3, s4, v125
	v_mad_u64_u32 v[0:1], s[0:1], s4, v124, 0
	v_lshl_add_u32 v12, v122, 4, 0
	v_add3_u32 v1, v1, v3, v2
	ds_read_b128 v[2:5], v12
	ds_read_b128 v[6:9], v12 offset:1632
	v_lshl_add_u64 v[0:1], v[0:1], 4, s[6:7]
	v_mov_b32_e32 v123, 0
	v_lshl_add_u64 v[0:1], v[120:121], 4, v[0:1]
	v_lshl_add_u64 v[10:11], v[122:123], 4, v[0:1]
	s_waitcnt lgkmcnt(1)
	global_store_dwordx4 v[10:11], v[2:5], off
	s_movk_i32 s0, 0x65
	v_cmp_eq_u32_e32 vcc, s0, v122
	v_add_u32_e32 v2, 0x66, v122
	v_mov_b32_e32 v3, v123
	v_lshl_add_u64 v[2:3], v[2:3], 4, v[0:1]
	s_waitcnt lgkmcnt(0)
	global_store_dwordx4 v[2:3], v[6:9], off
	ds_read_b128 v[2:5], v12 offset:3264
	s_nop 0
	v_add_u32_e32 v6, 0xcc, v122
	v_mov_b32_e32 v7, v123
	v_lshl_add_u64 v[10:11], v[6:7], 4, v[0:1]
	ds_read_b128 v[6:9], v12 offset:4896
	s_waitcnt lgkmcnt(1)
	global_store_dwordx4 v[10:11], v[2:5], off
	s_nop 1
	v_add_u32_e32 v2, 0x132, v122
	v_mov_b32_e32 v3, v123
	v_lshl_add_u64 v[2:3], v[2:3], 4, v[0:1]
	s_waitcnt lgkmcnt(0)
	global_store_dwordx4 v[2:3], v[6:9], off
	ds_read_b128 v[2:5], v12 offset:6528
	s_nop 0
	v_add_u32_e32 v6, 0x198, v122
	v_mov_b32_e32 v7, v123
	v_lshl_add_u64 v[10:11], v[6:7], 4, v[0:1]
	ds_read_b128 v[6:9], v12 offset:8160
	s_waitcnt lgkmcnt(1)
	global_store_dwordx4 v[10:11], v[2:5], off
	s_nop 1
	;; [unrolled: 14-line block ×6, first 2 shown]
	v_add_u32_e32 v2, 0x52e, v122
	v_mov_b32_e32 v3, v123
	v_lshl_add_u64 v[10:11], v[2:3], 4, v[0:1]
	ds_read_b128 v[2:5], v12 offset:22848
	s_waitcnt lgkmcnt(1)
	global_store_dwordx4 v[10:11], v[6:9], off
	s_nop 1
	v_add_u32_e32 v6, 0x594, v122
	v_mov_b32_e32 v7, v123
	v_lshl_add_u64 v[6:7], v[6:7], 4, v[0:1]
	s_waitcnt lgkmcnt(0)
	global_store_dwordx4 v[6:7], v[2:5], off
	s_and_b64 exec, exec, vcc
	s_cbranch_execz .LBB0_28
; %bb.27:
	ds_read_b128 v[2:5], v123 offset:24480
	v_add_co_u32_e32 v0, vcc, 0x5000, v0
	s_nop 1
	v_addc_co_u32_e32 v1, vcc, 0, v1, vcc
	s_waitcnt lgkmcnt(0)
	global_store_dwordx4 v[0:1], v[2:5], off offset:4000
.LBB0_28:
	s_endpgm
	.section	.rodata,"a",@progbits
	.p2align	6, 0x0
	.amdhsa_kernel fft_rtc_back_len1530_factors_17_3_6_5_wgs_102_tpt_102_halfLds_dp_op_CI_CI_unitstride_sbrr_R2C_dirReg
		.amdhsa_group_segment_fixed_size 0
		.amdhsa_private_segment_fixed_size 0
		.amdhsa_kernarg_size 104
		.amdhsa_user_sgpr_count 2
		.amdhsa_user_sgpr_dispatch_ptr 0
		.amdhsa_user_sgpr_queue_ptr 0
		.amdhsa_user_sgpr_kernarg_segment_ptr 1
		.amdhsa_user_sgpr_dispatch_id 0
		.amdhsa_user_sgpr_kernarg_preload_length 0
		.amdhsa_user_sgpr_kernarg_preload_offset 0
		.amdhsa_user_sgpr_private_segment_size 0
		.amdhsa_uses_dynamic_stack 0
		.amdhsa_enable_private_segment 0
		.amdhsa_system_sgpr_workgroup_id_x 1
		.amdhsa_system_sgpr_workgroup_id_y 0
		.amdhsa_system_sgpr_workgroup_id_z 0
		.amdhsa_system_sgpr_workgroup_info 0
		.amdhsa_system_vgpr_workitem_id 0
		.amdhsa_next_free_vgpr 282
		.amdhsa_next_free_sgpr 58
		.amdhsa_accum_offset 256
		.amdhsa_reserve_vcc 1
		.amdhsa_float_round_mode_32 0
		.amdhsa_float_round_mode_16_64 0
		.amdhsa_float_denorm_mode_32 3
		.amdhsa_float_denorm_mode_16_64 3
		.amdhsa_dx10_clamp 1
		.amdhsa_ieee_mode 1
		.amdhsa_fp16_overflow 0
		.amdhsa_tg_split 0
		.amdhsa_exception_fp_ieee_invalid_op 0
		.amdhsa_exception_fp_denorm_src 0
		.amdhsa_exception_fp_ieee_div_zero 0
		.amdhsa_exception_fp_ieee_overflow 0
		.amdhsa_exception_fp_ieee_underflow 0
		.amdhsa_exception_fp_ieee_inexact 0
		.amdhsa_exception_int_div_zero 0
	.end_amdhsa_kernel
	.text
.Lfunc_end0:
	.size	fft_rtc_back_len1530_factors_17_3_6_5_wgs_102_tpt_102_halfLds_dp_op_CI_CI_unitstride_sbrr_R2C_dirReg, .Lfunc_end0-fft_rtc_back_len1530_factors_17_3_6_5_wgs_102_tpt_102_halfLds_dp_op_CI_CI_unitstride_sbrr_R2C_dirReg
                                        ; -- End function
	.section	.AMDGPU.csdata,"",@progbits
; Kernel info:
; codeLenInByte = 16500
; NumSgprs: 64
; NumVgprs: 256
; NumAgprs: 26
; TotalNumVgprs: 282
; ScratchSize: 0
; MemoryBound: 0
; FloatMode: 240
; IeeeMode: 1
; LDSByteSize: 0 bytes/workgroup (compile time only)
; SGPRBlocks: 7
; VGPRBlocks: 35
; NumSGPRsForWavesPerEU: 64
; NumVGPRsForWavesPerEU: 282
; AccumOffset: 256
; Occupancy: 1
; WaveLimiterHint : 1
; COMPUTE_PGM_RSRC2:SCRATCH_EN: 0
; COMPUTE_PGM_RSRC2:USER_SGPR: 2
; COMPUTE_PGM_RSRC2:TRAP_HANDLER: 0
; COMPUTE_PGM_RSRC2:TGID_X_EN: 1
; COMPUTE_PGM_RSRC2:TGID_Y_EN: 0
; COMPUTE_PGM_RSRC2:TGID_Z_EN: 0
; COMPUTE_PGM_RSRC2:TIDIG_COMP_CNT: 0
; COMPUTE_PGM_RSRC3_GFX90A:ACCUM_OFFSET: 63
; COMPUTE_PGM_RSRC3_GFX90A:TG_SPLIT: 0
	.text
	.p2alignl 6, 3212836864
	.fill 256, 4, 3212836864
	.type	__hip_cuid_64f8ce0f821eb7f8,@object ; @__hip_cuid_64f8ce0f821eb7f8
	.section	.bss,"aw",@nobits
	.globl	__hip_cuid_64f8ce0f821eb7f8
__hip_cuid_64f8ce0f821eb7f8:
	.byte	0                               ; 0x0
	.size	__hip_cuid_64f8ce0f821eb7f8, 1

	.ident	"AMD clang version 19.0.0git (https://github.com/RadeonOpenCompute/llvm-project roc-6.4.0 25133 c7fe45cf4b819c5991fe208aaa96edf142730f1d)"
	.section	".note.GNU-stack","",@progbits
	.addrsig
	.addrsig_sym __hip_cuid_64f8ce0f821eb7f8
	.amdgpu_metadata
---
amdhsa.kernels:
  - .agpr_count:     26
    .args:
      - .actual_access:  read_only
        .address_space:  global
        .offset:         0
        .size:           8
        .value_kind:     global_buffer
      - .offset:         8
        .size:           8
        .value_kind:     by_value
      - .actual_access:  read_only
        .address_space:  global
        .offset:         16
        .size:           8
        .value_kind:     global_buffer
      - .actual_access:  read_only
        .address_space:  global
        .offset:         24
        .size:           8
        .value_kind:     global_buffer
      - .actual_access:  read_only
        .address_space:  global
        .offset:         32
        .size:           8
        .value_kind:     global_buffer
      - .offset:         40
        .size:           8
        .value_kind:     by_value
      - .actual_access:  read_only
        .address_space:  global
        .offset:         48
        .size:           8
        .value_kind:     global_buffer
      - .actual_access:  read_only
        .address_space:  global
        .offset:         56
        .size:           8
        .value_kind:     global_buffer
      - .offset:         64
        .size:           4
        .value_kind:     by_value
      - .actual_access:  read_only
        .address_space:  global
        .offset:         72
        .size:           8
        .value_kind:     global_buffer
      - .actual_access:  read_only
        .address_space:  global
        .offset:         80
        .size:           8
        .value_kind:     global_buffer
      - .actual_access:  read_only
        .address_space:  global
        .offset:         88
        .size:           8
        .value_kind:     global_buffer
      - .actual_access:  write_only
        .address_space:  global
        .offset:         96
        .size:           8
        .value_kind:     global_buffer
    .group_segment_fixed_size: 0
    .kernarg_segment_align: 8
    .kernarg_segment_size: 104
    .language:       OpenCL C
    .language_version:
      - 2
      - 0
    .max_flat_workgroup_size: 102
    .name:           fft_rtc_back_len1530_factors_17_3_6_5_wgs_102_tpt_102_halfLds_dp_op_CI_CI_unitstride_sbrr_R2C_dirReg
    .private_segment_fixed_size: 0
    .sgpr_count:     64
    .sgpr_spill_count: 0
    .symbol:         fft_rtc_back_len1530_factors_17_3_6_5_wgs_102_tpt_102_halfLds_dp_op_CI_CI_unitstride_sbrr_R2C_dirReg.kd
    .uniform_work_group_size: 1
    .uses_dynamic_stack: false
    .vgpr_count:     282
    .vgpr_spill_count: 0
    .wavefront_size: 64
amdhsa.target:   amdgcn-amd-amdhsa--gfx950
amdhsa.version:
  - 1
  - 2
...

	.end_amdgpu_metadata
